;; amdgpu-corpus repo=ROCm/rocFFT kind=compiled arch=gfx906 opt=O3
	.text
	.amdgcn_target "amdgcn-amd-amdhsa--gfx906"
	.amdhsa_code_object_version 6
	.protected	fft_rtc_fwd_len1925_factors_7_11_5_5_wgs_55_tpt_55_halfLds_dp_ip_CI_unitstride_sbrr_dirReg ; -- Begin function fft_rtc_fwd_len1925_factors_7_11_5_5_wgs_55_tpt_55_halfLds_dp_ip_CI_unitstride_sbrr_dirReg
	.globl	fft_rtc_fwd_len1925_factors_7_11_5_5_wgs_55_tpt_55_halfLds_dp_ip_CI_unitstride_sbrr_dirReg
	.p2align	8
	.type	fft_rtc_fwd_len1925_factors_7_11_5_5_wgs_55_tpt_55_halfLds_dp_ip_CI_unitstride_sbrr_dirReg,@function
fft_rtc_fwd_len1925_factors_7_11_5_5_wgs_55_tpt_55_halfLds_dp_ip_CI_unitstride_sbrr_dirReg: ; @fft_rtc_fwd_len1925_factors_7_11_5_5_wgs_55_tpt_55_halfLds_dp_ip_CI_unitstride_sbrr_dirReg
; %bb.0:
	s_mov_b64 s[42:43], s[2:3]
	s_mov_b64 s[40:41], s[0:1]
	s_load_dwordx2 s[2:3], s[4:5], 0x50
	s_load_dwordx4 s[8:11], s[4:5], 0x0
	s_load_dwordx2 s[12:13], s[4:5], 0x18
	v_mul_u32_u24_e32 v1, 0x4a8, v0
	s_add_u32 s40, s40, s7
	v_add_u32_sdwa v5, s6, v1 dst_sel:DWORD dst_unused:UNUSED_PAD src0_sel:DWORD src1_sel:WORD_1
	s_waitcnt lgkmcnt(0)
	v_cmp_lt_u64_e64 s[0:1], s[10:11], 2
	v_mov_b32_e32 v3, 0
	v_mov_b32_e32 v1, 0
	s_addc_u32 s41, s41, 0
	v_mov_b32_e32 v6, v3
	s_and_b64 vcc, exec, s[0:1]
	v_mov_b32_e32 v2, 0
	s_cbranch_vccnz .LBB0_8
; %bb.1:
	s_load_dwordx2 s[0:1], s[4:5], 0x10
	s_add_u32 s6, s12, 8
	s_addc_u32 s7, s13, 0
	v_mov_b32_e32 v1, 0
	v_mov_b32_e32 v2, 0
	s_waitcnt lgkmcnt(0)
	s_add_u32 s14, s0, 8
	s_addc_u32 s15, s1, 0
	s_mov_b64 s[16:17], 1
.LBB0_2:                                ; =>This Inner Loop Header: Depth=1
	s_load_dwordx2 s[18:19], s[14:15], 0x0
                                        ; implicit-def: $vgpr7_vgpr8
	s_waitcnt lgkmcnt(0)
	v_or_b32_e32 v4, s19, v6
	v_cmp_ne_u64_e32 vcc, 0, v[3:4]
	s_and_saveexec_b64 s[0:1], vcc
	s_xor_b64 s[20:21], exec, s[0:1]
	s_cbranch_execz .LBB0_4
; %bb.3:                                ;   in Loop: Header=BB0_2 Depth=1
	v_cvt_f32_u32_e32 v4, s18
	v_cvt_f32_u32_e32 v7, s19
	s_sub_u32 s0, 0, s18
	s_subb_u32 s1, 0, s19
	v_mac_f32_e32 v4, 0x4f800000, v7
	v_rcp_f32_e32 v4, v4
	v_mul_f32_e32 v4, 0x5f7ffffc, v4
	v_mul_f32_e32 v7, 0x2f800000, v4
	v_trunc_f32_e32 v7, v7
	v_mac_f32_e32 v4, 0xcf800000, v7
	v_cvt_u32_f32_e32 v7, v7
	v_cvt_u32_f32_e32 v4, v4
	v_mul_lo_u32 v8, s0, v7
	v_mul_hi_u32 v9, s0, v4
	v_mul_lo_u32 v11, s1, v4
	v_mul_lo_u32 v10, s0, v4
	v_add_u32_e32 v8, v9, v8
	v_add_u32_e32 v8, v8, v11
	v_mul_hi_u32 v9, v4, v10
	v_mul_lo_u32 v11, v4, v8
	v_mul_hi_u32 v13, v4, v8
	v_mul_hi_u32 v12, v7, v10
	v_mul_lo_u32 v10, v7, v10
	v_mul_hi_u32 v14, v7, v8
	v_add_co_u32_e32 v9, vcc, v9, v11
	v_addc_co_u32_e32 v11, vcc, 0, v13, vcc
	v_mul_lo_u32 v8, v7, v8
	v_add_co_u32_e32 v9, vcc, v9, v10
	v_addc_co_u32_e32 v9, vcc, v11, v12, vcc
	v_addc_co_u32_e32 v10, vcc, 0, v14, vcc
	v_add_co_u32_e32 v8, vcc, v9, v8
	v_addc_co_u32_e32 v9, vcc, 0, v10, vcc
	v_add_co_u32_e32 v4, vcc, v4, v8
	v_addc_co_u32_e32 v7, vcc, v7, v9, vcc
	v_mul_lo_u32 v8, s0, v7
	v_mul_hi_u32 v9, s0, v4
	v_mul_lo_u32 v10, s1, v4
	v_mul_lo_u32 v11, s0, v4
	v_add_u32_e32 v8, v9, v8
	v_add_u32_e32 v8, v8, v10
	v_mul_lo_u32 v12, v4, v8
	v_mul_hi_u32 v13, v4, v11
	v_mul_hi_u32 v14, v4, v8
	v_mul_hi_u32 v10, v7, v11
	v_mul_lo_u32 v11, v7, v11
	v_mul_hi_u32 v9, v7, v8
	v_add_co_u32_e32 v12, vcc, v13, v12
	v_addc_co_u32_e32 v13, vcc, 0, v14, vcc
	v_mul_lo_u32 v8, v7, v8
	v_add_co_u32_e32 v11, vcc, v12, v11
	v_addc_co_u32_e32 v10, vcc, v13, v10, vcc
	v_addc_co_u32_e32 v9, vcc, 0, v9, vcc
	v_add_co_u32_e32 v8, vcc, v10, v8
	v_addc_co_u32_e32 v9, vcc, 0, v9, vcc
	v_add_co_u32_e32 v4, vcc, v4, v8
	v_addc_co_u32_e32 v9, vcc, v7, v9, vcc
	v_mad_u64_u32 v[7:8], s[0:1], v5, v9, 0
	v_mul_hi_u32 v10, v5, v4
	v_add_co_u32_e32 v11, vcc, v10, v7
	v_addc_co_u32_e32 v12, vcc, 0, v8, vcc
	v_mad_u64_u32 v[7:8], s[0:1], v6, v4, 0
	v_mad_u64_u32 v[9:10], s[0:1], v6, v9, 0
	v_add_co_u32_e32 v4, vcc, v11, v7
	v_addc_co_u32_e32 v4, vcc, v12, v8, vcc
	v_addc_co_u32_e32 v7, vcc, 0, v10, vcc
	v_add_co_u32_e32 v4, vcc, v4, v9
	v_addc_co_u32_e32 v9, vcc, 0, v7, vcc
	v_mul_lo_u32 v10, s19, v4
	v_mul_lo_u32 v11, s18, v9
	v_mad_u64_u32 v[7:8], s[0:1], s18, v4, 0
	v_add3_u32 v8, v8, v11, v10
	v_sub_u32_e32 v10, v6, v8
	v_mov_b32_e32 v11, s19
	v_sub_co_u32_e32 v7, vcc, v5, v7
	v_subb_co_u32_e64 v10, s[0:1], v10, v11, vcc
	v_subrev_co_u32_e64 v11, s[0:1], s18, v7
	v_subbrev_co_u32_e64 v10, s[0:1], 0, v10, s[0:1]
	v_cmp_le_u32_e64 s[0:1], s19, v10
	v_cndmask_b32_e64 v12, 0, -1, s[0:1]
	v_cmp_le_u32_e64 s[0:1], s18, v11
	v_cndmask_b32_e64 v11, 0, -1, s[0:1]
	v_cmp_eq_u32_e64 s[0:1], s19, v10
	v_cndmask_b32_e64 v10, v12, v11, s[0:1]
	v_add_co_u32_e64 v11, s[0:1], 2, v4
	v_addc_co_u32_e64 v12, s[0:1], 0, v9, s[0:1]
	v_add_co_u32_e64 v13, s[0:1], 1, v4
	v_addc_co_u32_e64 v14, s[0:1], 0, v9, s[0:1]
	v_subb_co_u32_e32 v8, vcc, v6, v8, vcc
	v_cmp_ne_u32_e64 s[0:1], 0, v10
	v_cmp_le_u32_e32 vcc, s19, v8
	v_cndmask_b32_e64 v10, v14, v12, s[0:1]
	v_cndmask_b32_e64 v12, 0, -1, vcc
	v_cmp_le_u32_e32 vcc, s18, v7
	v_cndmask_b32_e64 v7, 0, -1, vcc
	v_cmp_eq_u32_e32 vcc, s19, v8
	v_cndmask_b32_e32 v7, v12, v7, vcc
	v_cmp_ne_u32_e32 vcc, 0, v7
	v_cndmask_b32_e64 v7, v13, v11, s[0:1]
	v_cndmask_b32_e32 v8, v9, v10, vcc
	v_cndmask_b32_e32 v7, v4, v7, vcc
.LBB0_4:                                ;   in Loop: Header=BB0_2 Depth=1
	s_andn2_saveexec_b64 s[0:1], s[20:21]
	s_cbranch_execz .LBB0_6
; %bb.5:                                ;   in Loop: Header=BB0_2 Depth=1
	v_cvt_f32_u32_e32 v4, s18
	s_sub_i32 s20, 0, s18
	v_rcp_iflag_f32_e32 v4, v4
	v_mul_f32_e32 v4, 0x4f7ffffe, v4
	v_cvt_u32_f32_e32 v4, v4
	v_mul_lo_u32 v7, s20, v4
	v_mul_hi_u32 v7, v4, v7
	v_add_u32_e32 v4, v4, v7
	v_mul_hi_u32 v4, v5, v4
	v_mul_lo_u32 v7, v4, s18
	v_add_u32_e32 v8, 1, v4
	v_sub_u32_e32 v7, v5, v7
	v_subrev_u32_e32 v9, s18, v7
	v_cmp_le_u32_e32 vcc, s18, v7
	v_cndmask_b32_e32 v7, v7, v9, vcc
	v_cndmask_b32_e32 v4, v4, v8, vcc
	v_add_u32_e32 v8, 1, v4
	v_cmp_le_u32_e32 vcc, s18, v7
	v_cndmask_b32_e32 v7, v4, v8, vcc
	v_mov_b32_e32 v8, v3
.LBB0_6:                                ;   in Loop: Header=BB0_2 Depth=1
	s_or_b64 exec, exec, s[0:1]
	v_mul_lo_u32 v4, v8, s18
	v_mul_lo_u32 v11, v7, s19
	v_mad_u64_u32 v[9:10], s[0:1], v7, s18, 0
	s_load_dwordx2 s[0:1], s[6:7], 0x0
	s_add_u32 s16, s16, 1
	v_add3_u32 v4, v10, v11, v4
	v_sub_co_u32_e32 v5, vcc, v5, v9
	v_subb_co_u32_e32 v4, vcc, v6, v4, vcc
	s_waitcnt lgkmcnt(0)
	v_mul_lo_u32 v4, s0, v4
	v_mul_lo_u32 v6, s1, v5
	v_mad_u64_u32 v[1:2], s[0:1], s0, v5, v[1:2]
	s_addc_u32 s17, s17, 0
	s_add_u32 s6, s6, 8
	v_add3_u32 v2, v6, v2, v4
	v_mov_b32_e32 v4, s10
	v_mov_b32_e32 v5, s11
	s_addc_u32 s7, s7, 0
	v_cmp_ge_u64_e32 vcc, s[16:17], v[4:5]
	s_add_u32 s14, s14, 8
	s_addc_u32 s15, s15, 0
	s_cbranch_vccnz .LBB0_9
; %bb.7:                                ;   in Loop: Header=BB0_2 Depth=1
	v_mov_b32_e32 v5, v7
	v_mov_b32_e32 v6, v8
	s_branch .LBB0_2
.LBB0_8:
	v_mov_b32_e32 v8, v6
	v_mov_b32_e32 v7, v5
.LBB0_9:
	s_lshl_b64 s[0:1], s[10:11], 3
	s_add_u32 s0, s12, s0
	s_addc_u32 s1, s13, s1
	s_load_dwordx2 s[6:7], s[0:1], 0x0
	s_load_dwordx2 s[10:11], s[4:5], 0x20
                                        ; implicit-def: $vgpr128_vgpr129
                                        ; implicit-def: $vgpr124_vgpr125
                                        ; implicit-def: $vgpr116_vgpr117
                                        ; implicit-def: $vgpr96_vgpr97
                                        ; implicit-def: $vgpr66_vgpr67
                                        ; implicit-def: $vgpr62_vgpr63
                                        ; implicit-def: $vgpr168_vgpr169
                                        ; implicit-def: $vgpr156_vgpr157
                                        ; implicit-def: $vgpr140_vgpr141
                                        ; implicit-def: $vgpr148_vgpr149
                                        ; implicit-def: $vgpr86_vgpr87
                                        ; implicit-def: $vgpr132_vgpr133
                                        ; implicit-def: $vgpr180_vgpr181
                                        ; implicit-def: $vgpr176_vgpr177
                                        ; implicit-def: $vgpr172_vgpr173
                                        ; implicit-def: $vgpr100_vgpr101
                                        ; implicit-def: $vgpr136_vgpr137
                                        ; implicit-def: $vgpr70_vgpr71
                                        ; implicit-def: $vgpr92_vgpr93
                                        ; implicit-def: $vgpr200_vgpr201
                                        ; implicit-def: $vgpr196_vgpr197
                                        ; implicit-def: $vgpr192_vgpr193
                                        ; implicit-def: $vgpr144_vgpr145
                                        ; implicit-def: $vgpr104_vgpr105
                                        ; implicit-def: $vgpr112_vgpr113
                                        ; implicit-def: $vgpr40_vgpr41
                                        ; implicit-def: $vgpr220_vgpr221
                                        ; implicit-def: $vgpr216_vgpr217
                                        ; implicit-def: $vgpr212_vgpr213
                                        ; implicit-def: $vgpr208_vgpr209
                                        ; implicit-def: $vgpr152_vgpr153
                                        ; implicit-def: $vgpr204_vgpr205
                                        ; implicit-def: $vgpr108_vgpr109
	s_waitcnt lgkmcnt(0)
	v_mul_lo_u32 v3, s6, v8
	v_mul_lo_u32 v4, s7, v7
	v_mad_u64_u32 v[1:2], s[0:1], s6, v7, v[1:2]
	s_mov_b32 s0, 0x4a7904b
	v_mul_hi_u32 v5, v0, s0
	v_add3_u32 v2, v4, v2, v3
	v_lshlrev_b64 v[1:2], 4, v[1:2]
	v_cmp_gt_u64_e32 vcc, s[10:11], v[7:8]
	v_mul_u32_u24_e32 v3, 55, v5
	buffer_store_dword v1, off, s[40:43], 0 ; 4-byte Folded Spill
	s_nop 0
	buffer_store_dword v2, off, s[40:43], 0 offset:4 ; 4-byte Folded Spill
	v_sub_u32_e32 v222, v0, v3
                                        ; implicit-def: $vgpr2_vgpr3
                                        ; implicit-def: $vgpr6_vgpr7
	s_and_saveexec_b64 s[4:5], vcc
	s_cbranch_execz .LBB0_11
; %bb.10:
	buffer_load_dword v2, off, s[40:43], 0  ; 4-byte Folded Reload
	buffer_load_dword v3, off, s[40:43], 0 offset:4 ; 4-byte Folded Reload
	v_mov_b32_e32 v223, 0
	v_mov_b32_e32 v0, s3
	s_waitcnt vmcnt(1)
	v_add_co_u32_e64 v2, s[0:1], s2, v2
	s_waitcnt vmcnt(0)
	v_addc_co_u32_e64 v3, s[0:1], v0, v3, s[0:1]
	v_lshlrev_b64 v[0:1], 4, v[222:223]
	v_add_co_u32_e64 v8, s[0:1], v2, v0
	v_addc_co_u32_e64 v9, s[0:1], v3, v1, s[0:1]
	s_movk_i32 s0, 0x1000
	v_add_co_u32_e64 v10, s[0:1], s0, v8
	v_addc_co_u32_e64 v11, s[0:1], 0, v9, s[0:1]
	s_movk_i32 s0, 0x2000
	;; [unrolled: 3-line block ×7, first 2 shown]
	v_add_co_u32_e64 v20, s[0:1], s0, v8
	global_load_dwordx4 v[106:109], v[8:9], off
	global_load_dwordx4 v[38:41], v[8:9], off offset:880
	global_load_dwordx4 v[150:153], v[0:1], off offset:608
	;; [unrolled: 1-line block ×11, first 2 shown]
	v_addc_co_u32_e64 v21, s[0:1], 0, v9, s[0:1]
	global_load_dwordx4 v[202:205], v[10:11], off offset:304
	global_load_dwordx4 v[0:3], v[8:9], off offset:3520
	;; [unrolled: 1-line block ×15, first 2 shown]
                                        ; kill: killed $vgpr14 killed $vgpr15
                                        ; kill: killed $vgpr12 killed $vgpr13
                                        ; kill: killed $vgpr8 killed $vgpr9
                                        ; kill: killed $vgpr10 killed $vgpr11
	global_load_dwordx4 v[114:117], v[16:17], off offset:640
	global_load_dwordx4 v[218:221], v[18:19], off offset:1824
                                        ; kill: killed $vgpr16 killed $vgpr17
	global_load_dwordx4 v[198:201], v[18:19], off offset:2704
	global_load_dwordx4 v[154:157], v[18:19], off offset:64
	;; [unrolled: 1-line block ×6, first 2 shown]
.LBB0_11:
	s_or_b64 exec, exec, s[4:5]
	s_waitcnt vmcnt(6)
	v_add_f64 v[8:9], v[218:219], v[202:203]
	v_add_f64 v[10:11], v[214:215], v[150:151]
	v_add_f64 v[16:17], v[210:211], v[206:207]
	v_add_f64 v[12:13], v[204:205], -v[220:221]
	v_add_f64 v[14:15], v[152:153], -v[216:217]
	;; [unrolled: 1-line block ×3, first 2 shown]
	s_mov_b32 s4, 0x37e14327
	s_mov_b32 s6, 0x36b3c0b5
	;; [unrolled: 1-line block ×3, first 2 shown]
	v_add_f64 v[20:21], v[10:11], v[8:9]
	v_add_f64 v[22:23], v[8:9], -v[16:17]
	s_mov_b32 s7, 0x3fac98ee
	v_add_f64 v[8:9], v[10:11], -v[8:9]
	v_add_f64 v[24:25], v[18:19], v[14:15]
	v_add_f64 v[26:27], v[18:19], -v[14:15]
	v_add_f64 v[14:15], v[14:15], -v[12:13]
	s_mov_b32 s12, 0xe976ee23
	v_add_f64 v[20:21], v[16:17], v[20:21]
	v_add_f64 v[16:17], v[16:17], -v[10:11]
	v_mul_f64 v[22:23], v[22:23], s[4:5]
	v_add_f64 v[10:11], v[12:13], -v[18:19]
	s_mov_b32 s10, 0x429ad128
	s_mov_b32 s14, 0xaaaaaaaa
	;; [unrolled: 1-line block ×4, first 2 shown]
	v_add_f64 v[32:33], v[106:107], v[20:21]
	v_mul_f64 v[18:19], v[16:17], s[6:7]
	s_mov_b32 s11, 0x3febfeb5
	s_mov_b32 s15, 0xbff2aaaa
	;; [unrolled: 1-line block ×5, first 2 shown]
	v_add_f64 v[12:13], v[24:25], v[12:13]
	v_mul_f64 v[24:25], v[26:27], s[12:13]
	v_mul_f64 v[26:27], v[14:15], s[10:11]
	v_fma_f64 v[16:17], v[16:17], s[6:7], v[22:23]
	v_fma_f64 v[20:21], v[20:21], s[14:15], v[32:33]
	v_fma_f64 v[18:19], v[8:9], s[16:17], -v[18:19]
	v_fma_f64 v[8:9], v[8:9], s[18:19], -v[22:23]
	s_mov_b32 s20, 0xb247c609
	s_mov_b32 s21, 0x3fd5d0dc
	;; [unrolled: 1-line block ×4, first 2 shown]
	v_fma_f64 v[22:23], v[10:11], s[20:21], v[24:25]
	v_fma_f64 v[14:15], v[14:15], s[10:11], -v[24:25]
	v_fma_f64 v[10:11], v[10:11], s[24:25], -v[26:27]
	v_add_f64 v[16:17], v[16:17], v[20:21]
	v_add_f64 v[18:19], v[18:19], v[20:21]
	;; [unrolled: 1-line block ×3, first 2 shown]
	s_waitcnt vmcnt(5)
	v_add_f64 v[20:21], v[198:199], v[110:111]
	v_add_f64 v[24:25], v[194:195], v[102:103]
	s_mov_b32 s22, 0x37c3f68c
	s_mov_b32 s23, 0x3fdc38aa
	v_fma_f64 v[22:23], v[12:13], s[22:23], v[22:23]
	v_fma_f64 v[10:11], v[12:13], s[22:23], v[10:11]
	;; [unrolled: 1-line block ×3, first 2 shown]
	v_add_f64 v[14:15], v[190:191], v[142:143]
	v_add_f64 v[28:29], v[104:105], -v[196:197]
	v_add_f64 v[26:27], v[24:25], v[20:21]
	v_add_f64 v[30:31], v[192:193], -v[144:145]
	s_waitcnt vmcnt(2)
	v_add_f64 v[46:47], v[178:179], v[68:69]
	v_add_f64 v[34:35], v[22:23], v[16:17]
	;; [unrolled: 1-line block ×3, first 2 shown]
	v_add_f64 v[42:43], v[18:19], -v[12:13]
	v_add_f64 v[12:13], v[12:13], v[18:19]
	v_add_f64 v[18:19], v[112:113], -v[200:201]
	v_add_f64 v[26:27], v[14:15], v[26:27]
	v_add_f64 v[44:45], v[20:21], -v[14:15]
	v_add_f64 v[14:15], v[14:15], -v[24:25]
	;; [unrolled: 1-line block ×4, first 2 shown]
	v_add_f64 v[16:17], v[30:31], v[28:29]
	v_add_f64 v[22:23], v[30:31], -v[28:29]
	v_add_f64 v[28:29], v[28:29], -v[18:19]
	v_add_f64 v[38:39], v[38:39], v[26:27]
	v_mul_f64 v[44:45], v[44:45], s[4:5]
	v_add_f64 v[20:21], v[24:25], -v[20:21]
	v_add_f64 v[24:25], v[18:19], -v[30:31]
	v_mul_f64 v[30:31], v[14:15], s[6:7]
	v_add_f64 v[16:17], v[16:17], v[18:19]
	v_mul_f64 v[18:19], v[22:23], s[12:13]
	v_mul_f64 v[22:23], v[28:29], s[10:11]
	v_fma_f64 v[26:27], v[26:27], s[14:15], v[38:39]
	v_fma_f64 v[14:15], v[14:15], s[6:7], v[44:45]
	v_add_f64 v[48:49], v[174:175], v[134:135]
	v_add_f64 v[50:51], v[172:173], -v[100:101]
	v_fma_f64 v[30:31], v[20:21], s[16:17], -v[30:31]
	v_fma_f64 v[20:21], v[20:21], s[18:19], -v[44:45]
	v_fma_f64 v[44:45], v[24:25], s[20:21], v[18:19]
	v_fma_f64 v[18:19], v[28:29], s[10:11], -v[18:19]
	v_fma_f64 v[22:23], v[24:25], s[24:25], -v[22:23]
	v_add_f64 v[14:15], v[14:15], v[26:27]
	v_add_f64 v[24:25], v[170:171], v[98:99]
	v_add_f64 v[28:29], v[48:49], v[46:47]
	v_add_f64 v[30:31], v[30:31], v[26:27]
	v_add_f64 v[20:21], v[20:21], v[26:27]
	v_add_f64 v[26:27], v[136:137], -v[176:177]
	v_add_f64 v[52:53], v[70:71], -v[180:181]
	v_fma_f64 v[44:45], v[16:17], s[22:23], v[44:45]
	v_fma_f64 v[18:19], v[16:17], s[22:23], v[18:19]
	v_add_f64 v[54:55], v[46:47], -v[24:25]
	v_add_f64 v[28:29], v[24:25], v[28:29]
	v_add_f64 v[24:25], v[24:25], -v[48:49]
	v_fma_f64 v[16:17], v[16:17], s[22:23], v[22:23]
	v_add_f64 v[22:23], v[50:51], -v[26:27]
	v_add_f64 v[56:57], v[26:27], -v[52:53]
	;; [unrolled: 1-line block ×3, first 2 shown]
	v_add_f64 v[26:27], v[50:51], v[26:27]
	v_mul_f64 v[54:55], v[54:55], s[4:5]
	v_add_f64 v[48:49], v[90:91], v[28:29]
	v_mul_f64 v[58:59], v[24:25], s[6:7]
	v_add_f64 v[50:51], v[52:53], -v[50:51]
	v_mul_f64 v[22:23], v[22:23], s[12:13]
	v_mul_f64 v[72:73], v[56:57], s[10:11]
	v_add_f64 v[74:75], v[44:45], v[14:15]
	v_add_f64 v[26:27], v[26:27], v[52:53]
	v_fma_f64 v[24:25], v[24:25], s[6:7], v[54:55]
	v_fma_f64 v[28:29], v[28:29], s[14:15], v[48:49]
	v_fma_f64 v[52:53], v[46:47], s[16:17], -v[58:59]
	v_fma_f64 v[46:47], v[46:47], s[18:19], -v[54:55]
	v_fma_f64 v[54:55], v[50:51], s[20:21], v[22:23]
	v_fma_f64 v[22:23], v[56:57], s[10:11], -v[22:23]
	v_fma_f64 v[50:51], v[50:51], s[24:25], -v[72:73]
	v_add_f64 v[56:57], v[154:155], v[84:85]
	v_add_f64 v[72:73], v[30:31], -v[18:19]
	v_add_f64 v[24:25], v[24:25], v[28:29]
	v_add_f64 v[52:53], v[52:53], v[28:29]
	;; [unrolled: 1-line block ×3, first 2 shown]
	v_fma_f64 v[46:47], v[26:27], s[22:23], v[54:55]
	s_waitcnt vmcnt(1)
	v_add_f64 v[54:55], v[166:167], v[130:131]
	v_fma_f64 v[22:23], v[26:27], s[22:23], v[22:23]
	v_fma_f64 v[50:51], v[26:27], s[22:23], v[50:51]
	v_add_f64 v[18:19], v[18:19], v[30:31]
	v_add_f64 v[14:15], v[14:15], -v[44:45]
	v_add_f64 v[30:31], v[138:139], v[146:147]
	v_add_f64 v[78:79], v[86:87], -v[156:157]
	v_add_f64 v[80:81], v[140:141], -v[148:149]
	v_add_f64 v[44:45], v[56:57], v[54:55]
	v_add_f64 v[76:77], v[52:53], -v[22:23]
	v_add_f64 v[22:23], v[22:23], v[52:53]
	;; [unrolled: 2-line block ×4, first 2 shown]
	v_add_f64 v[26:27], v[50:51], v[28:29]
	v_add_f64 v[50:51], v[28:29], -v[50:51]
	v_add_f64 v[24:25], v[24:25], -v[46:47]
	v_add_f64 v[28:29], v[30:31], v[44:45]
	v_add_f64 v[44:45], v[54:55], -v[30:31]
	v_add_f64 v[30:31], v[30:31], -v[56:57]
	;; [unrolled: 3-line block ×3, first 2 shown]
	v_add_f64 v[54:55], v[56:57], -v[54:55]
	v_add_f64 v[56:57], v[52:53], -v[80:81]
	v_add_f64 v[80:81], v[4:5], v[28:29]
	v_mul_f64 v[4:5], v[44:45], s[4:5]
	v_mul_f64 v[44:45], v[30:31], s[6:7]
	v_add_f64 v[46:47], v[46:47], v[52:53]
	v_mul_f64 v[52:53], v[82:83], s[12:13]
	v_mul_f64 v[82:83], v[78:79], s[10:11]
	s_waitcnt vmcnt(0)
	v_add_f64 v[88:89], v[126:127], v[60:61]
	v_add_f64 v[90:91], v[122:123], v[64:65]
	v_fma_f64 v[28:29], v[28:29], s[14:15], v[80:81]
	v_fma_f64 v[30:31], v[30:31], s[6:7], v[4:5]
	v_fma_f64 v[44:45], v[54:55], s[16:17], -v[44:45]
	v_fma_f64 v[4:5], v[54:55], s[18:19], -v[4:5]
	v_fma_f64 v[54:55], v[56:57], s[20:21], v[52:53]
	v_fma_f64 v[52:53], v[78:79], s[10:11], -v[52:53]
	v_add_f64 v[78:79], v[114:115], v[94:95]
	v_add_f64 v[106:107], v[90:91], v[88:89]
	v_fma_f64 v[56:57], v[56:57], s[24:25], -v[82:83]
	v_add_f64 v[82:83], v[66:67], -v[124:125]
	v_add_f64 v[118:119], v[116:117], -v[96:97]
	;; [unrolled: 1-line block ×3, first 2 shown]
	v_add_f64 v[30:31], v[30:31], v[28:29]
	v_add_f64 v[44:45], v[44:45], v[28:29]
	;; [unrolled: 1-line block ×4, first 2 shown]
	v_add_f64 v[106:107], v[88:89], -v[78:79]
	v_add_f64 v[78:79], v[78:79], -v[90:91]
	;; [unrolled: 1-line block ×5, first 2 shown]
	v_add_f64 v[82:83], v[118:119], v[82:83]
	v_add_f64 v[118:119], v[120:121], -v[118:119]
	v_add_f64 v[90:91], v[0:1], v[28:29]
	v_mul_f64 v[0:1], v[106:107], s[4:5]
	v_mul_f64 v[106:107], v[78:79], s[6:7]
	;; [unrolled: 1-line block ×4, first 2 shown]
	v_fma_f64 v[54:55], v[46:47], s[22:23], v[54:55]
	v_add_f64 v[82:83], v[82:83], v[120:121]
	v_fma_f64 v[52:53], v[46:47], s[22:23], v[52:53]
	v_fma_f64 v[28:29], v[28:29], s[14:15], v[90:91]
	;; [unrolled: 1-line block ×3, first 2 shown]
	v_fma_f64 v[106:107], v[88:89], s[16:17], -v[106:107]
	v_fma_f64 v[0:1], v[88:89], s[18:19], -v[0:1]
	v_fma_f64 v[88:89], v[118:119], s[20:21], v[158:159]
	v_fma_f64 v[118:119], v[118:119], s[24:25], -v[162:163]
	v_fma_f64 v[120:121], v[160:161], s[10:11], -v[158:159]
	v_fma_f64 v[46:47], v[46:47], s[22:23], v[56:57]
	v_add_f64 v[56:57], v[54:55], v[30:31]
	v_add_f64 v[78:79], v[78:79], v[28:29]
	;; [unrolled: 1-line block ×4, first 2 shown]
	v_fma_f64 v[88:89], v[82:83], s[22:23], v[88:89]
	v_fma_f64 v[28:29], v[82:83], s[22:23], v[118:119]
	;; [unrolled: 1-line block ×3, first 2 shown]
	v_add_f64 v[118:119], v[46:47], v[4:5]
	v_add_f64 v[120:121], v[44:45], -v[52:53]
	v_add_f64 v[44:45], v[52:53], v[44:45]
	v_add_f64 v[46:47], v[4:5], -v[46:47]
	v_add_f64 v[52:53], v[30:31], -v[54:55]
	v_add_f64 v[54:55], v[88:89], v[78:79]
	v_add_f64 v[158:159], v[28:29], v[0:1]
	v_add_f64 v[160:161], v[106:107], -v[82:83]
	v_add_f64 v[82:83], v[82:83], v[106:107]
	v_add_f64 v[28:29], v[0:1], -v[28:29]
	v_add_f64 v[30:31], v[78:79], -v[88:89]
	v_mad_u32_u24 v0, v222, 56, 0
	v_lshl_add_u32 v223, v222, 3, 0
	ds_write2_b64 v0, v[32:33], v[34:35] offset1:1
	ds_write2_b64 v0, v[36:37], v[42:43] offset0:2 offset1:3
	ds_write2_b64 v0, v[12:13], v[8:9] offset0:4 offset1:5
	ds_write_b64 v0, v[10:11] offset:48
	v_add_u32_e32 v1, 0xc08, v0
	v_add_u32_e32 v4, 0xc18, v0
	;; [unrolled: 1-line block ×21, first 2 shown]
	ds_write2_b64 v1, v[38:39], v[74:75] offset1:1
	ds_write2_b64 v4, v[58:59], v[72:73] offset1:1
	ds_write2_b64 v5, v[18:19], v[16:17] offset1:1
	ds_write_b64 v0, v[14:15] offset:3128
	ds_write2_b64 v42, v[48:49], v[20:21] offset1:1
	ds_write2_b64 v43, v[26:27], v[76:77] offset1:1
	ds_write2_b64 v106, v[22:23], v[50:51] offset1:1
	ds_write_b64 v0, v[24:25] offset:6208
	;; [unrolled: 4-line block ×4, first 2 shown]
	s_waitcnt lgkmcnt(0)
	; wave barrier
	s_waitcnt lgkmcnt(0)
	ds_read2_b64 v[12:15], v223 offset1:55
	ds_read2_b64 v[8:11], v223 offset0:110 offset1:175
	ds_read2_b64 v[186:189], v238 offset0:94 offset1:149
	ds_read2_b64 v[76:79], v239 offset0:76 offset1:141
	ds_read2_b64 v[182:185], v235 offset0:188 offset1:243
	ds_read2_b64 v[72:75], v236 offset0:42 offset1:107
	ds_read2_b64 v[162:165], v240 offset0:26 offset1:81
	ds_read2_b64 v[48:51], v240 offset0:136 offset1:201
	ds_read2_b64 v[158:161], v237 offset0:120 offset1:175
	ds_read2_b64 v[44:47], v241 offset0:102 offset1:167
	ds_read2_b64 v[118:121], v242 offset0:86 offset1:141
	ds_read2_b64 v[88:91], v243 offset0:102 offset1:157
	ds_read2_b64 v[80:83], v235 offset0:68 offset1:123
	ds_read2_b64 v[56:59], v236 offset0:162 offset1:217
	ds_read2_b64 v[52:55], v237 offset1:55
	v_add_u32_e32 v244, 0x3000, v223
	ds_read2_b64 v[36:39], v244 offset0:94 offset1:149
	ds_read_b64 v[228:229], v223 offset:14880
	v_cmp_gt_u32_e64 s[0:1], 10, v222
                                        ; implicit-def: $vgpr226_vgpr227
                                        ; implicit-def: $vgpr18_vgpr19
                                        ; implicit-def: $vgpr22_vgpr23
                                        ; implicit-def: $vgpr26_vgpr27
                                        ; implicit-def: $vgpr34_vgpr35
	s_and_saveexec_b64 s[26:27], s[0:1]
	s_cbranch_execz .LBB0_13
; %bb.12:
	v_add_u32_e32 v16, 0x1a00, v223
	ds_read2_b64 v[28:31], v243 offset0:37 offset1:212
	ds_read2_b64 v[32:35], v235 offset0:3 offset1:178
	;; [unrolled: 1-line block ×3, first 2 shown]
	v_add_u32_e32 v16, 0x2400, v223
	ds_read2_b64 v[20:23], v16 offset0:63 offset1:238
	ds_read2_b64 v[16:19], v244 offset0:29 offset1:204
	ds_read_b64 v[226:227], v223 offset:15320
.LBB0_13:
	s_or_b64 exec, exec, s[26:27]
	v_add_f64 v[204:205], v[220:221], v[204:205]
	v_add_f64 v[152:153], v[216:217], v[152:153]
	v_add_f64 v[150:151], v[150:151], -v[214:215]
	v_add_f64 v[208:209], v[212:213], v[208:209]
	v_add_f64 v[206:207], v[210:211], -v[206:207]
	v_add_f64 v[202:203], v[202:203], -v[218:219]
	v_add_f64 v[112:113], v[200:201], v[112:113]
	v_add_f64 v[104:105], v[196:197], v[104:105]
	v_add_f64 v[110:111], v[110:111], -v[198:199]
	v_add_f64 v[210:211], v[152:153], v[204:205]
	v_add_f64 v[102:103], v[102:103], -v[194:195]
	v_add_f64 v[212:213], v[204:205], -v[208:209]
	;; [unrolled: 1-line block ×4, first 2 shown]
	v_add_f64 v[150:151], v[206:207], v[150:151]
	v_add_f64 v[206:207], v[202:203], -v[206:207]
	v_add_f64 v[142:143], v[190:191], -v[142:143]
	v_add_f64 v[210:211], v[208:209], v[210:211]
	v_add_f64 v[208:209], v[208:209], -v[152:153]
	v_mul_f64 v[212:213], v[212:213], s[4:5]
	v_mul_f64 v[214:215], v[214:215], s[12:13]
	;; [unrolled: 1-line block ×3, first 2 shown]
	v_add_f64 v[152:153], v[152:153], -v[204:205]
	v_add_f64 v[150:151], v[150:151], v[202:203]
	v_add_f64 v[144:145], v[192:193], v[144:145]
	v_add_f64 v[108:109], v[108:109], v[210:211]
	v_mul_f64 v[204:205], v[208:209], s[6:7]
	v_fma_f64 v[202:203], v[208:209], s[6:7], v[212:213]
	v_fma_f64 v[208:209], v[206:207], s[20:21], v[214:215]
	v_fma_f64 v[200:201], v[200:201], s[10:11], -v[214:215]
	v_fma_f64 v[196:197], v[206:207], s[24:25], -v[196:197]
	v_add_f64 v[192:193], v[104:105], v[112:113]
	v_add_f64 v[190:191], v[112:113], -v[144:145]
	v_fma_f64 v[206:207], v[210:211], s[14:15], v[108:109]
	v_fma_f64 v[210:211], v[152:153], s[18:19], -v[212:213]
	v_fma_f64 v[152:153], v[152:153], s[16:17], -v[204:205]
	v_fma_f64 v[204:205], v[150:151], s[22:23], v[208:209]
	v_fma_f64 v[200:201], v[150:151], s[22:23], v[200:201]
	;; [unrolled: 1-line block ×3, first 2 shown]
	v_add_f64 v[192:193], v[144:145], v[192:193]
	v_add_f64 v[144:145], v[144:145], -v[104:105]
	v_add_f64 v[196:197], v[202:203], v[206:207]
	v_add_f64 v[202:203], v[210:211], v[206:207]
	;; [unrolled: 1-line block ×3, first 2 shown]
	v_add_f64 v[104:105], v[104:105], -v[112:113]
	v_add_f64 v[112:113], v[110:111], -v[142:143]
	v_add_f64 v[70:71], v[180:181], v[70:71]
	v_add_f64 v[136:137], v[176:177], v[136:137]
	;; [unrolled: 1-line block ×3, first 2 shown]
	v_add_f64 v[134:135], v[134:135], -v[174:175]
	v_add_f64 v[198:199], v[202:203], -v[150:151]
	v_add_f64 v[206:207], v[200:201], v[152:153]
	v_add_f64 v[152:153], v[152:153], -v[200:201]
	v_add_f64 v[150:151], v[150:151], v[202:203]
	v_add_f64 v[200:201], v[142:143], v[102:103]
	v_add_f64 v[202:203], v[142:143], -v[102:103]
	v_add_f64 v[102:103], v[102:103], -v[110:111]
	v_add_f64 v[172:173], v[136:137], v[70:71]
	v_add_f64 v[98:99], v[170:171], -v[98:99]
	v_add_f64 v[68:69], v[68:69], -v[178:179]
	v_add_f64 v[40:41], v[40:41], v[192:193]
	v_mul_f64 v[142:143], v[144:145], s[6:7]
	v_add_f64 v[110:111], v[200:201], v[110:111]
	v_mul_f64 v[200:201], v[202:203], s[12:13]
	v_mul_f64 v[202:203], v[102:103], s[10:11]
	v_add_f64 v[172:173], v[100:101], v[172:173]
	v_add_f64 v[174:175], v[70:71], -v[100:101]
	v_add_f64 v[100:101], v[100:101], -v[136:137]
	v_fma_f64 v[192:193], v[192:193], s[14:15], v[40:41]
	v_fma_f64 v[142:143], v[104:105], s[16:17], -v[142:143]
	v_add_f64 v[70:71], v[136:137], -v[70:71]
	v_fma_f64 v[176:177], v[112:113], s[20:21], v[200:201]
	v_fma_f64 v[102:103], v[102:103], s[10:11], -v[200:201]
	v_fma_f64 v[112:113], v[112:113], s[24:25], -v[202:203]
	v_add_f64 v[92:93], v[92:93], v[172:173]
	v_mul_f64 v[136:137], v[174:175], s[4:5]
	v_mul_f64 v[174:175], v[100:101], s[6:7]
	v_add_f64 v[142:143], v[142:143], v[192:193]
	v_add_f64 v[132:133], v[168:169], v[132:133]
	v_fma_f64 v[170:171], v[110:111], s[22:23], v[176:177]
	v_fma_f64 v[102:103], v[110:111], s[22:23], v[102:103]
	;; [unrolled: 1-line block ×3, first 2 shown]
	v_add_f64 v[112:113], v[98:99], -v[134:135]
	v_add_f64 v[176:177], v[134:135], -v[68:69]
	v_add_f64 v[134:135], v[98:99], v[134:135]
	v_add_f64 v[98:99], v[68:69], -v[98:99]
	v_fma_f64 v[100:101], v[100:101], s[6:7], v[136:137]
	v_add_f64 v[86:87], v[156:157], v[86:87]
	v_add_f64 v[140:141], v[140:141], v[148:149]
	v_add_f64 v[84:85], v[84:85], -v[154:155]
	v_mul_f64 v[112:113], v[112:113], s[12:13]
	v_mul_f64 v[178:179], v[176:177], s[10:11]
	v_add_f64 v[68:69], v[134:135], v[68:69]
	v_fma_f64 v[134:135], v[172:173], s[14:15], v[92:93]
	v_fma_f64 v[172:173], v[70:71], s[16:17], -v[174:175]
	v_fma_f64 v[70:71], v[70:71], s[18:19], -v[136:137]
	v_add_f64 v[138:139], v[138:139], -v[146:147]
	v_add_f64 v[130:131], v[130:131], -v[166:167]
	v_fma_f64 v[136:137], v[98:99], s[20:21], v[112:113]
	v_fma_f64 v[98:99], v[98:99], s[24:25], -v[178:179]
	v_add_f64 v[178:179], v[102:103], v[142:143]
	v_fma_f64 v[112:113], v[176:177], s[10:11], -v[112:113]
	v_add_f64 v[100:101], v[100:101], v[134:135]
	v_add_f64 v[172:173], v[172:173], v[134:135]
	;; [unrolled: 1-line block ×3, first 2 shown]
	v_add_f64 v[102:103], v[142:143], -v[102:103]
	v_fma_f64 v[134:135], v[68:69], s[22:23], v[136:137]
	v_fma_f64 v[98:99], v[68:69], s[22:23], v[98:99]
	v_add_f64 v[142:143], v[86:87], v[132:133]
	v_fma_f64 v[68:69], v[68:69], s[22:23], v[112:113]
	v_add_f64 v[146:147], v[138:139], -v[84:85]
	v_add_f64 v[62:63], v[128:129], v[62:63]
	v_add_f64 v[66:67], v[124:125], v[66:67]
	;; [unrolled: 1-line block ×3, first 2 shown]
	v_add_f64 v[112:113], v[100:101], -v[134:135]
	v_add_f64 v[136:137], v[70:71], -v[98:99]
	v_add_f64 v[98:99], v[98:99], v[70:71]
	v_add_f64 v[100:101], v[134:135], v[100:101]
	;; [unrolled: 1-line block ×3, first 2 shown]
	v_add_f64 v[134:135], v[132:133], -v[140:141]
	v_add_f64 v[140:141], v[140:141], -v[86:87]
	v_add_f64 v[142:143], v[138:139], v[84:85]
	v_add_f64 v[86:87], v[86:87], -v[132:133]
	v_add_f64 v[132:133], v[130:131], -v[138:139]
	;; [unrolled: 1-line block ×3, first 2 shown]
	v_add_f64 v[116:117], v[66:67], v[62:63]
	v_add_f64 v[6:7], v[6:7], v[70:71]
	v_mul_f64 v[134:135], v[134:135], s[4:5]
	v_mul_f64 v[138:139], v[140:141], s[6:7]
	v_add_f64 v[130:131], v[142:143], v[130:131]
	v_mul_f64 v[142:143], v[146:147], s[12:13]
	v_add_f64 v[64:65], v[64:65], -v[122:123]
	v_add_f64 v[94:95], v[114:115], -v[94:95]
	;; [unrolled: 1-line block ×3, first 2 shown]
	v_fma_f64 v[70:71], v[70:71], s[14:15], v[6:7]
	v_fma_f64 v[124:125], v[140:141], s[6:7], v[134:135]
	v_fma_f64 v[128:129], v[86:87], s[16:17], -v[138:139]
	v_fma_f64 v[86:87], v[86:87], s[18:19], -v[134:135]
	v_fma_f64 v[134:135], v[132:133], s[20:21], v[142:143]
	v_mul_f64 v[190:191], v[190:191], s[4:5]
	v_add_f64 v[126:127], v[94:95], -v[64:65]
	v_mul_f64 v[146:147], v[84:85], s[10:11]
	v_fma_f64 v[84:85], v[84:85], s[10:11], -v[142:143]
	v_add_f64 v[124:125], v[124:125], v[70:71]
	v_add_f64 v[114:115], v[128:129], v[70:71]
	;; [unrolled: 1-line block ×4, first 2 shown]
	v_add_f64 v[116:117], v[62:63], -v[96:97]
	v_add_f64 v[96:97], v[96:97], -v[66:67]
	;; [unrolled: 1-line block ×3, first 2 shown]
	v_fma_f64 v[122:123], v[130:131], s[22:23], v[134:135]
	v_add_f64 v[62:63], v[66:67], -v[62:63]
	v_add_f64 v[64:65], v[94:95], v[64:65]
	v_add_f64 v[94:95], v[60:61], -v[94:95]
	v_add_f64 v[2:3], v[2:3], v[86:87]
	v_mul_f64 v[66:67], v[116:117], s[4:5]
	v_mul_f64 v[116:117], v[96:97], s[6:7]
	;; [unrolled: 1-line block ×4, first 2 shown]
	v_fma_f64 v[144:145], v[144:145], s[6:7], v[190:191]
	v_fma_f64 v[104:105], v[104:105], s[18:19], -v[190:191]
	v_fma_f64 v[132:133], v[132:133], s[24:25], -v[146:147]
	v_add_f64 v[60:61], v[64:65], v[60:61]
	v_fma_f64 v[64:65], v[86:87], s[14:15], v[2:3]
	v_fma_f64 v[86:87], v[96:97], s[6:7], v[66:67]
	v_fma_f64 v[96:97], v[62:63], s[16:17], -v[116:117]
	v_fma_f64 v[62:63], v[62:63], s[18:19], -v[66:67]
	v_fma_f64 v[66:67], v[94:95], s[20:21], v[126:127]
	v_fma_f64 v[94:95], v[94:95], s[24:25], -v[134:135]
	v_fma_f64 v[116:117], v[128:129], s[10:11], -v[126:127]
	v_add_f64 v[144:145], v[144:145], v[192:193]
	v_add_f64 v[104:105], v[104:105], v[192:193]
	v_fma_f64 v[84:85], v[130:131], s[22:23], v[84:85]
	v_fma_f64 v[126:127], v[130:131], s[22:23], v[132:133]
	v_add_f64 v[86:87], v[86:87], v[64:65]
	v_add_f64 v[96:97], v[96:97], v[64:65]
	;; [unrolled: 1-line block ×3, first 2 shown]
	v_fma_f64 v[64:65], v[60:61], s[22:23], v[66:67]
	v_fma_f64 v[66:67], v[60:61], s[22:23], v[94:95]
	;; [unrolled: 1-line block ×3, first 2 shown]
	v_add_f64 v[194:195], v[196:197], -v[204:205]
	v_add_f64 v[196:197], v[204:205], v[196:197]
	v_add_f64 v[180:181], v[144:145], -v[170:171]
	v_add_f64 v[174:175], v[104:105], -v[110:111]
	v_add_f64 v[104:105], v[110:111], v[104:105]
	v_add_f64 v[110:111], v[170:171], v[144:145]
	;; [unrolled: 1-line block ×3, first 2 shown]
	v_add_f64 v[128:129], v[124:125], -v[122:123]
	v_add_f64 v[94:95], v[70:71], -v[126:127]
	v_add_f64 v[130:131], v[84:85], v[114:115]
	v_add_f64 v[84:85], v[114:115], -v[84:85]
	v_add_f64 v[114:115], v[126:127], v[70:71]
	v_add_f64 v[122:123], v[122:123], v[124:125]
	v_add_f64 v[124:125], v[86:87], -v[64:65]
	v_add_f64 v[126:127], v[62:63], -v[66:67]
	v_add_f64 v[132:133], v[60:61], v[96:97]
	v_add_f64 v[68:69], v[172:173], -v[68:69]
	v_add_f64 v[60:61], v[96:97], -v[60:61]
	v_add_f64 v[116:117], v[66:67], v[62:63]
	v_add_f64 v[70:71], v[64:65], v[86:87]
	s_waitcnt lgkmcnt(0)
	; wave barrier
	s_waitcnt lgkmcnt(0)
	ds_write2_b64 v0, v[108:109], v[194:195] offset1:1
	ds_write2_b64 v0, v[198:199], v[206:207] offset0:2 offset1:3
	ds_write2_b64 v0, v[152:153], v[150:151] offset0:4 offset1:5
	ds_write_b64 v0, v[196:197] offset:48
	ds_write2_b64 v1, v[40:41], v[180:181] offset1:1
	ds_write2_b64 v4, v[174:175], v[178:179] offset1:1
	ds_write2_b64 v5, v[102:103], v[104:105] offset1:1
	ds_write_b64 v0, v[110:111] offset:3128
	ds_write2_b64 v42, v[92:93], v[112:113] offset1:1
	ds_write2_b64 v43, v[136:137], v[144:145] offset1:1
	ds_write2_b64 v106, v[68:69], v[98:99] offset1:1
	;; [unrolled: 4-line block ×4, first 2 shown]
	ds_write_b64 v0, v[70:71] offset:12368
	s_waitcnt lgkmcnt(0)
	; wave barrier
	s_waitcnt lgkmcnt(0)
	ds_read2_b64 v[4:7], v223 offset1:55
	ds_read2_b64 v[0:3], v223 offset0:110 offset1:175
	ds_read2_b64 v[150:153], v238 offset0:94 offset1:149
	;; [unrolled: 1-line block ×13, first 2 shown]
	ds_read2_b64 v[104:107], v237 offset1:55
	ds_read2_b64 v[92:95], v244 offset0:94 offset1:149
	ds_read_b64 v[178:179], v223 offset:14880
                                        ; implicit-def: $vgpr200_vgpr201
                                        ; implicit-def: $vgpr42_vgpr43
                                        ; implicit-def: $vgpr62_vgpr63
                                        ; implicit-def: $vgpr66_vgpr67
                                        ; implicit-def: $vgpr86_vgpr87
	s_and_saveexec_b64 s[4:5], s[0:1]
	s_cbranch_execz .LBB0_15
; %bb.14:
	v_add_u32_e32 v40, 0x400, v223
	ds_read2_b64 v[68:71], v40 offset0:37 offset1:212
	v_add_u32_e32 v40, 0x1000, v223
	ds_read2_b64 v[84:87], v40 offset0:3 offset1:178
	;; [unrolled: 2-line block ×5, first 2 shown]
	ds_read_b64 v[200:201], v223 offset:15320
	s_waitcnt lgkmcnt(5)
	v_mov_b32_e32 v117, v69
	v_mov_b32_e32 v116, v68
.LBB0_15:
	s_or_b64 exec, exec, s[4:5]
	v_mov_b32_e32 v180, 37
	v_mul_lo_u16_sdwa v68, v222, v180 dst_sel:DWORD dst_unused:UNUSED_PAD src0_sel:BYTE_0 src1_sel:DWORD
	v_sub_u16_sdwa v69, v222, v68 dst_sel:DWORD dst_unused:UNUSED_PAD src0_sel:DWORD src1_sel:BYTE_1
	v_lshrrev_b16_e32 v69, 1, v69
	v_and_b32_e32 v69, 0x7f, v69
	v_add_u16_sdwa v68, v69, v68 dst_sel:DWORD dst_unused:UNUSED_PAD src0_sel:DWORD src1_sel:BYTE_1
	v_lshrrev_b16_e32 v230, 2, v68
	v_mul_lo_u16_e32 v68, 7, v230
	v_sub_u16_e32 v231, v222, v68
	v_mov_b32_e32 v181, 10
	v_mul_u32_u24_sdwa v68, v231, v181 dst_sel:DWORD dst_unused:UNUSED_PAD src0_sel:BYTE_0 src1_sel:DWORD
	v_lshlrev_b32_e32 v176, 4, v68
	global_load_dwordx4 v[172:175], v176, s[8:9] offset:48
	global_load_dwordx4 v[190:193], v176, s[8:9] offset:32
	;; [unrolled: 1-line block ×3, first 2 shown]
	global_load_dwordx4 v[194:197], v176, s[8:9]
	v_add_u32_e32 v221, 55, v222
	v_add_u32_e32 v199, 0x6e, v222
	;; [unrolled: 1-line block ×3, first 2 shown]
	s_mov_b32 s10, 0xf8bb580b
	s_mov_b32 s24, 0x8eee2c13
	;; [unrolled: 1-line block ×28, first 2 shown]
	s_waitcnt vmcnt(0) lgkmcnt(14)
	v_mul_f64 v[68:69], v[2:3], v[196:197]
	v_fma_f64 v[168:169], v[10:11], v[194:195], -v[68:69]
	v_mul_f64 v[10:11], v[10:11], v[196:197]
	v_fma_f64 v[170:171], v[2:3], v[194:195], v[10:11]
	v_mul_f64 v[2:3], v[150:151], v[156:157]
	v_fma_f64 v[166:167], v[186:187], v[154:155], -v[2:3]
	v_mul_f64 v[2:3], v[186:187], v[156:157]
	v_fma_f64 v[154:155], v[150:151], v[154:155], v[2:3]
	s_waitcnt lgkmcnt(13)
	v_mul_f64 v[2:3], v[124:125], v[192:193]
	v_fma_f64 v[156:157], v[78:79], v[190:191], -v[2:3]
	v_mul_f64 v[2:3], v[78:79], v[192:193]
	v_fma_f64 v[150:151], v[124:125], v[190:191], v[2:3]
	s_waitcnt lgkmcnt(12)
	v_mul_f64 v[2:3], v[146:147], v[174:175]
	v_fma_f64 v[124:125], v[182:183], v[172:173], -v[2:3]
	v_mul_f64 v[2:3], v[182:183], v[174:175]
	v_fma_f64 v[78:79], v[146:147], v[172:173], v[2:3]
	global_load_dwordx4 v[172:175], v176, s[8:9] offset:112
	global_load_dwordx4 v[190:193], v176, s[8:9] offset:96
	;; [unrolled: 1-line block ×4, first 2 shown]
	s_waitcnt vmcnt(1) lgkmcnt(10)
	v_mul_f64 v[10:11], v[142:143], v[196:197]
	s_waitcnt vmcnt(0)
	v_mul_f64 v[2:3], v[114:115], v[204:205]
	v_fma_f64 v[68:69], v[74:75], v[202:203], -v[2:3]
	v_mul_f64 v[2:3], v[74:75], v[204:205]
	v_fma_f64 v[74:75], v[162:163], v[194:195], -v[10:11]
	v_mul_f64 v[10:11], v[162:163], v[196:197]
	v_fma_f64 v[2:3], v[114:115], v[202:203], v[2:3]
	s_waitcnt lgkmcnt(9)
	v_mul_f64 v[114:115], v[102:103], v[192:193]
	v_fma_f64 v[10:11], v[142:143], v[194:195], v[10:11]
	v_fma_f64 v[114:115], v[50:51], v[190:191], -v[114:115]
	v_mul_f64 v[50:51], v[50:51], v[192:193]
	v_fma_f64 v[50:51], v[102:103], v[190:191], v[50:51]
	s_waitcnt lgkmcnt(8)
	v_mul_f64 v[102:103], v[138:139], v[174:175]
	v_fma_f64 v[162:163], v[158:159], v[172:173], -v[102:103]
	v_mul_f64 v[102:103], v[158:159], v[174:175]
	v_fma_f64 v[142:143], v[138:139], v[172:173], v[102:103]
	global_load_dwordx4 v[172:175], v176, s[8:9] offset:144
	global_load_dwordx4 v[190:193], v176, s[8:9] offset:128
	s_waitcnt vmcnt(0) lgkmcnt(7)
	v_mul_f64 v[102:103], v[98:99], v[192:193]
	v_fma_f64 v[158:159], v[46:47], v[190:191], -v[102:103]
	v_mul_f64 v[46:47], v[46:47], v[192:193]
	v_fma_f64 v[138:139], v[98:99], v[190:191], v[46:47]
	s_waitcnt lgkmcnt(6)
	v_mul_f64 v[46:47], v[134:135], v[174:175]
	v_fma_f64 v[176:177], v[118:119], v[172:173], -v[46:47]
	v_mul_f64 v[46:47], v[118:119], v[174:175]
	v_fma_f64 v[118:119], v[134:135], v[172:173], v[46:47]
	v_mul_lo_u16_sdwa v46, v221, v180 dst_sel:DWORD dst_unused:UNUSED_PAD src0_sel:BYTE_0 src1_sel:DWORD
	v_sub_u16_sdwa v47, v221, v46 dst_sel:DWORD dst_unused:UNUSED_PAD src0_sel:DWORD src1_sel:BYTE_1
	v_lshrrev_b16_e32 v47, 1, v47
	v_and_b32_e32 v47, 0x7f, v47
	v_add_u16_sdwa v46, v47, v46 dst_sel:DWORD dst_unused:UNUSED_PAD src0_sel:DWORD src1_sel:BYTE_1
	v_lshrrev_b16_e32 v232, 2, v46
	v_mul_lo_u16_e32 v46, 7, v232
	v_sub_u16_e32 v233, v221, v46
	v_mul_u32_u24_sdwa v46, v233, v181 dst_sel:DWORD dst_unused:UNUSED_PAD src0_sel:BYTE_0 src1_sel:DWORD
	v_lshlrev_b32_e32 v198, 4, v46
	global_load_dwordx4 v[190:193], v198, s[8:9] offset:48
	global_load_dwordx4 v[194:197], v198, s[8:9] offset:32
	;; [unrolled: 1-line block ×3, first 2 shown]
	global_load_dwordx4 v[206:209], v198, s[8:9]
	s_waitcnt vmcnt(0) lgkmcnt(5)
	v_mul_f64 v[46:47], v[130:131], v[208:209]
	v_fma_f64 v[174:175], v[88:89], v[206:207], -v[46:47]
	v_mul_f64 v[46:47], v[88:89], v[208:209]
	v_fma_f64 v[172:173], v[130:131], v[206:207], v[46:47]
	v_mul_f64 v[46:47], v[152:153], v[204:205]
	v_fma_f64 v[146:147], v[188:189], v[202:203], -v[46:47]
	v_mul_f64 v[46:47], v[188:189], v[204:205]
	v_fma_f64 v[134:135], v[152:153], v[202:203], v[46:47]
	s_waitcnt lgkmcnt(4)
	v_mul_f64 v[46:47], v[126:127], v[196:197]
	v_fma_f64 v[130:131], v[80:81], v[194:195], -v[46:47]
	v_mul_f64 v[46:47], v[80:81], v[196:197]
	v_fma_f64 v[126:127], v[126:127], v[194:195], v[46:47]
	v_mul_f64 v[46:47], v[148:149], v[192:193]
	v_fma_f64 v[80:81], v[184:185], v[190:191], -v[46:47]
	v_mul_f64 v[46:47], v[184:185], v[192:193]
	v_fma_f64 v[46:47], v[148:149], v[190:191], v[46:47]
	global_load_dwordx4 v[182:185], v198, s[8:9] offset:112
	global_load_dwordx4 v[186:189], v198, s[8:9] offset:96
	;; [unrolled: 1-line block ×4, first 2 shown]
	s_waitcnt vmcnt(0) lgkmcnt(3)
	v_mul_f64 v[88:89], v[108:109], v[196:197]
	v_fma_f64 v[98:99], v[56:57], v[194:195], -v[88:89]
	v_mul_f64 v[56:57], v[56:57], v[196:197]
	v_mul_f64 v[88:89], v[144:145], v[192:193]
	v_fma_f64 v[56:57], v[108:109], v[194:195], v[56:57]
	s_waitcnt lgkmcnt(2)
	v_mul_f64 v[108:109], v[104:105], v[188:189]
	v_fma_f64 v[102:103], v[164:165], v[190:191], -v[88:89]
	v_mul_f64 v[88:89], v[164:165], v[192:193]
	v_fma_f64 v[108:109], v[52:53], v[186:187], -v[108:109]
	v_mul_f64 v[52:53], v[52:53], v[188:189]
	v_fma_f64 v[88:89], v[144:145], v[190:191], v[88:89]
	v_fma_f64 v[104:105], v[104:105], v[186:187], v[52:53]
	v_mul_f64 v[52:53], v[140:141], v[184:185]
	v_add_f64 v[240:241], v[56:57], -v[88:89]
	v_fma_f64 v[144:145], v[160:161], v[182:183], -v[52:53]
	v_mul_f64 v[52:53], v[160:161], v[184:185]
	v_fma_f64 v[140:141], v[140:141], v[182:183], v[52:53]
	global_load_dwordx4 v[182:185], v198, s[8:9] offset:144
	global_load_dwordx4 v[186:189], v198, s[8:9] offset:128
	s_waitcnt vmcnt(0) lgkmcnt(1)
	v_mul_f64 v[52:53], v[92:93], v[188:189]
	v_fma_f64 v[152:153], v[36:37], v[186:187], -v[52:53]
	v_mul_f64 v[36:37], v[36:37], v[188:189]
	v_fma_f64 v[148:149], v[92:93], v[186:187], v[36:37]
	v_mul_f64 v[36:37], v[136:137], v[184:185]
	v_fma_f64 v[164:165], v[120:121], v[182:183], -v[36:37]
	v_mul_f64 v[36:37], v[120:121], v[184:185]
	v_fma_f64 v[160:161], v[136:137], v[182:183], v[36:37]
	v_mul_lo_u16_sdwa v36, v199, v180 dst_sel:DWORD dst_unused:UNUSED_PAD src0_sel:BYTE_0 src1_sel:DWORD
	v_sub_u16_sdwa v37, v199, v36 dst_sel:DWORD dst_unused:UNUSED_PAD src0_sel:DWORD src1_sel:BYTE_1
	v_lshrrev_b16_e32 v37, 1, v37
	v_and_b32_e32 v37, 0x7f, v37
	v_add_u16_sdwa v36, v37, v36 dst_sel:DWORD dst_unused:UNUSED_PAD src0_sel:DWORD src1_sel:BYTE_1
	v_lshrrev_b16_e32 v234, 2, v36
	v_mul_lo_u16_e32 v36, 7, v234
	v_sub_u16_e32 v235, v199, v36
	v_mul_u32_u24_sdwa v36, v235, v181 dst_sel:DWORD dst_unused:UNUSED_PAD src0_sel:BYTE_0 src1_sel:DWORD
	v_lshlrev_b32_e32 v202, 4, v36
	global_load_dwordx4 v[182:185], v202, s[8:9] offset:48
	global_load_dwordx4 v[186:189], v202, s[8:9] offset:32
	;; [unrolled: 1-line block ×3, first 2 shown]
	global_load_dwordx4 v[194:197], v202, s[8:9]
	s_waitcnt vmcnt(0)
	v_mul_f64 v[36:37], v[132:133], v[196:197]
	v_fma_f64 v[136:137], v[90:91], v[194:195], -v[36:37]
	v_mul_f64 v[36:37], v[90:91], v[196:197]
	v_fma_f64 v[132:133], v[132:133], v[194:195], v[36:37]
	v_mul_f64 v[36:37], v[122:123], v[192:193]
	v_fma_f64 v[120:121], v[76:77], v[190:191], -v[36:37]
	v_mul_f64 v[36:37], v[76:77], v[192:193]
	v_fma_f64 v[92:93], v[122:123], v[190:191], v[36:37]
	;; [unrolled: 4-line block ×4, first 2 shown]
	global_load_dwordx4 v[188:191], v202, s[8:9] offset:112
	global_load_dwordx4 v[192:195], v202, s[8:9] offset:96
	;; [unrolled: 1-line block ×4, first 2 shown]
	s_waitcnt vmcnt(1)
	v_mul_f64 v[82:83], v[100:101], v[184:185]
	s_waitcnt vmcnt(0)
	v_mul_f64 v[72:73], v[110:111], v[198:199]
	v_fma_f64 v[128:129], v[48:49], v[182:183], -v[82:83]
	v_mul_f64 v[82:83], v[106:107], v[194:195]
	v_fma_f64 v[72:73], v[58:59], v[196:197], -v[72:73]
	v_mul_f64 v[58:59], v[58:59], v[198:199]
	v_mul_f64 v[48:49], v[48:49], v[184:185]
	v_fma_f64 v[184:185], v[54:55], v[192:193], -v[82:83]
	v_mul_f64 v[54:55], v[54:55], v[194:195]
	v_mul_f64 v[82:83], v[96:97], v[190:191]
	v_fma_f64 v[58:59], v[110:111], v[196:197], v[58:59]
	v_fma_f64 v[48:49], v[100:101], v[182:183], v[48:49]
	v_fma_f64 v[54:55], v[106:107], v[192:193], v[54:55]
	v_fma_f64 v[186:187], v[44:45], v[188:189], -v[82:83]
	v_mul_f64 v[44:45], v[44:45], v[190:191]
	global_load_dwordx4 v[110:113], v202, s[8:9] offset:144
	global_load_dwordx4 v[190:193], v202, s[8:9] offset:128
	v_fma_f64 v[44:45], v[96:97], v[188:189], v[44:45]
	s_waitcnt vmcnt(0)
	v_mul_f64 v[82:83], v[94:95], v[192:193]
	v_fma_f64 v[188:189], v[38:39], v[190:191], -v[82:83]
	s_waitcnt lgkmcnt(0)
	v_mul_f64 v[82:83], v[178:179], v[112:113]
	v_mul_f64 v[38:39], v[38:39], v[192:193]
	v_fma_f64 v[192:193], v[228:229], v[110:111], -v[82:83]
	v_mul_f64 v[82:83], v[228:229], v[112:113]
	v_mov_b32_e32 v229, v210
	v_fma_f64 v[38:39], v[94:95], v[190:191], v[38:39]
	v_fma_f64 v[190:191], v[178:179], v[110:111], v[82:83]
	v_mul_lo_u16_sdwa v82, v229, v180 dst_sel:DWORD dst_unused:UNUSED_PAD src0_sel:BYTE_0 src1_sel:DWORD
	v_sub_u16_sdwa v83, v229, v82 dst_sel:DWORD dst_unused:UNUSED_PAD src0_sel:DWORD src1_sel:BYTE_1
	v_lshrrev_b16_e32 v83, 1, v83
	v_and_b32_e32 v83, 0x7f, v83
	v_add_u16_sdwa v82, v83, v82 dst_sel:DWORD dst_unused:UNUSED_PAD src0_sel:DWORD src1_sel:BYTE_1
	v_lshrrev_b16_e32 v218, 2, v82
	v_mul_lo_u16_e32 v82, 7, v218
	v_sub_u16_e32 v228, v229, v82
	v_mul_u32_u24_sdwa v82, v228, v181 dst_sel:DWORD dst_unused:UNUSED_PAD src0_sel:BYTE_0 src1_sel:DWORD
	v_lshlrev_b32_e32 v122, 4, v82
	global_load_dwordx4 v[194:197], v122, s[8:9] offset:48
	global_load_dwordx4 v[202:205], v122, s[8:9] offset:32
	;; [unrolled: 1-line block ×3, first 2 shown]
	global_load_dwordx4 v[110:113], v122, s[8:9]
	s_waitcnt vmcnt(0)
	v_mul_f64 v[82:83], v[70:71], v[112:113]
	v_fma_f64 v[178:179], v[30:31], v[110:111], -v[82:83]
	v_mul_f64 v[30:31], v[30:31], v[112:113]
	v_fma_f64 v[180:181], v[70:71], v[110:111], v[30:31]
	v_mul_f64 v[30:31], v[84:85], v[96:97]
	v_fma_f64 v[106:107], v[32:33], v[94:95], -v[30:31]
	v_mul_f64 v[30:31], v[32:33], v[96:97]
	v_fma_f64 v[110:111], v[84:85], v[94:95], v[30:31]
	;; [unrolled: 4-line block ×4, first 2 shown]
	buffer_store_dword v24, off, s[40:43], 0 offset:8 ; 4-byte Folded Spill
	s_nop 0
	buffer_store_dword v25, off, s[40:43], 0 offset:12 ; 4-byte Folded Spill
	global_load_dwordx4 v[30:33], v122, s[8:9] offset:112
	global_load_dwordx4 v[194:197], v122, s[8:9] offset:96
	;; [unrolled: 1-line block ×4, first 2 shown]
	s_waitcnt vmcnt(0)
	v_mul_f64 v[24:25], v[66:67], v[208:209]
	v_fma_f64 v[96:97], v[26:27], v[206:207], -v[24:25]
	v_mul_f64 v[24:25], v[26:27], v[208:209]
	v_fma_f64 v[66:67], v[66:67], v[206:207], v[24:25]
	v_mul_f64 v[24:25], v[60:61], v[204:205]
	v_fma_f64 v[100:101], v[20:21], v[202:203], -v[24:25]
	v_mul_f64 v[20:21], v[20:21], v[204:205]
	v_add_f64 v[204:205], v[2:3], -v[10:11]
	v_fma_f64 v[86:87], v[60:61], v[202:203], v[20:21]
	v_mul_f64 v[20:21], v[62:63], v[196:197]
	v_fma_f64 v[219:220], v[22:23], v[194:195], -v[20:21]
	v_mul_f64 v[20:21], v[22:23], v[196:197]
	v_fma_f64 v[112:113], v[62:63], v[194:195], v[20:21]
	v_mul_f64 v[20:21], v[40:41], v[32:33]
	v_fma_f64 v[182:183], v[16:17], v[30:31], -v[20:21]
	global_load_dwordx4 v[20:23], v122, s[8:9] offset:144
	global_load_dwordx4 v[24:27], v122, s[8:9] offset:128
	v_mul_f64 v[16:17], v[16:17], v[32:33]
	s_waitcnt lgkmcnt(0)
	; wave barrier
	v_fma_f64 v[16:17], v[40:41], v[30:31], v[16:17]
	s_waitcnt vmcnt(0)
	v_mul_f64 v[30:31], v[42:43], v[26:27]
	v_fma_f64 v[196:197], v[18:19], v[24:25], -v[30:31]
	v_mul_f64 v[18:19], v[18:19], v[26:27]
	v_fma_f64 v[194:195], v[42:43], v[24:25], v[18:19]
	v_mul_f64 v[18:19], v[200:201], v[22:23]
	v_add_f64 v[24:25], v[170:171], -v[118:119]
	v_fma_f64 v[198:199], v[226:227], v[20:21], -v[18:19]
	v_mul_f64 v[18:19], v[226:227], v[22:23]
	v_add_f64 v[22:23], v[168:169], v[176:177]
	v_mul_f64 v[26:27], v[24:25], s[10:11]
	v_mul_f64 v[32:33], v[24:25], s[24:25]
	;; [unrolled: 1-line block ×5, first 2 shown]
	v_fma_f64 v[18:19], v[200:201], v[20:21], v[18:19]
	v_add_f64 v[20:21], v[12:13], v[168:169]
	v_fma_f64 v[30:31], v[22:23], s[4:5], -v[26:27]
	v_fma_f64 v[26:27], v[22:23], s[4:5], v[26:27]
	v_fma_f64 v[34:35], v[22:23], s[6:7], -v[32:33]
	v_fma_f64 v[32:33], v[22:23], s[6:7], v[32:33]
	;; [unrolled: 2-line block ×5, first 2 shown]
	v_add_f64 v[24:25], v[154:155], -v[138:139]
	v_add_f64 v[30:31], v[12:13], v[30:31]
	v_add_f64 v[26:27], v[12:13], v[26:27]
	;; [unrolled: 1-line block ×11, first 2 shown]
	v_mul_f64 v[200:201], v[24:25], s[24:25]
	v_add_f64 v[20:21], v[20:21], v[166:167]
	v_fma_f64 v[202:203], v[22:23], s[6:7], -v[200:201]
	v_fma_f64 v[200:201], v[22:23], s[6:7], v[200:201]
	v_add_f64 v[20:21], v[20:21], v[156:157]
	v_add_f64 v[30:31], v[202:203], v[30:31]
	v_add_f64 v[26:27], v[200:201], v[26:27]
	v_mul_f64 v[200:201], v[24:25], s[18:19]
	v_add_f64 v[20:21], v[20:21], v[124:125]
	v_fma_f64 v[202:203], v[22:23], s[16:17], -v[200:201]
	v_fma_f64 v[200:201], v[22:23], s[16:17], v[200:201]
	v_add_f64 v[20:21], v[20:21], v[68:69]
	v_add_f64 v[34:35], v[202:203], v[34:35]
	v_add_f64 v[32:33], v[200:201], v[32:33]
	;; [unrolled: 7-line block ×3, first 2 shown]
	v_mul_f64 v[200:201], v[24:25], s[28:29]
	v_mul_f64 v[24:25], v[24:25], s[26:27]
	v_add_f64 v[20:21], v[20:21], v[162:163]
	v_fma_f64 v[202:203], v[22:23], s[14:15], -v[200:201]
	v_fma_f64 v[200:201], v[22:23], s[14:15], v[200:201]
	v_add_f64 v[20:21], v[20:21], v[158:159]
	v_add_f64 v[62:63], v[202:203], v[62:63]
	;; [unrolled: 1-line block ×3, first 2 shown]
	v_fma_f64 v[200:201], v[22:23], s[4:5], -v[24:25]
	v_fma_f64 v[22:23], v[22:23], s[4:5], v[24:25]
	v_add_f64 v[24:25], v[150:151], -v[142:143]
	v_add_f64 v[20:21], v[20:21], v[176:177]
	v_add_f64 v[70:71], v[200:201], v[70:71]
	v_add_f64 v[12:13], v[22:23], v[12:13]
	v_add_f64 v[22:23], v[156:157], v[162:163]
	v_mul_f64 v[200:201], v[24:25], s[12:13]
	v_fma_f64 v[202:203], v[22:23], s[14:15], -v[200:201]
	v_fma_f64 v[200:201], v[22:23], s[14:15], v[200:201]
	v_add_f64 v[30:31], v[202:203], v[30:31]
	v_add_f64 v[26:27], v[200:201], v[26:27]
	v_mul_f64 v[200:201], v[24:25], s[30:31]
	v_fma_f64 v[202:203], v[22:23], s[20:21], -v[200:201]
	v_fma_f64 v[200:201], v[22:23], s[20:21], v[200:201]
	v_add_f64 v[34:35], v[202:203], v[34:35]
	v_add_f64 v[32:33], v[200:201], v[32:33]
	;; [unrolled: 5-line block ×3, first 2 shown]
	v_mul_f64 v[200:201], v[24:25], s[10:11]
	v_mul_f64 v[24:25], v[24:25], s[18:19]
	v_fma_f64 v[202:203], v[22:23], s[4:5], -v[200:201]
	v_fma_f64 v[200:201], v[22:23], s[4:5], v[200:201]
	v_add_f64 v[62:63], v[202:203], v[62:63]
	v_add_f64 v[60:61], v[200:201], v[60:61]
	v_fma_f64 v[200:201], v[22:23], s[16:17], -v[24:25]
	v_fma_f64 v[22:23], v[22:23], s[16:17], v[24:25]
	v_add_f64 v[24:25], v[78:79], -v[50:51]
	v_add_f64 v[70:71], v[200:201], v[70:71]
	v_add_f64 v[12:13], v[22:23], v[12:13]
	;; [unrolled: 1-line block ×3, first 2 shown]
	v_mul_f64 v[200:201], v[24:25], s[18:19]
	v_fma_f64 v[202:203], v[22:23], s[16:17], -v[200:201]
	v_fma_f64 v[200:201], v[22:23], s[16:17], v[200:201]
	v_add_f64 v[30:31], v[202:203], v[30:31]
	v_add_f64 v[26:27], v[200:201], v[26:27]
	v_mul_f64 v[200:201], v[24:25], s[28:29]
	v_fma_f64 v[202:203], v[22:23], s[14:15], -v[200:201]
	v_fma_f64 v[200:201], v[22:23], s[14:15], v[200:201]
	v_add_f64 v[34:35], v[202:203], v[34:35]
	v_add_f64 v[32:33], v[200:201], v[32:33]
	;; [unrolled: 5-line block ×3, first 2 shown]
	v_mul_f64 v[200:201], v[24:25], s[22:23]
	v_mul_f64 v[24:25], v[24:25], s[34:35]
	v_fma_f64 v[202:203], v[22:23], s[20:21], -v[200:201]
	v_fma_f64 v[200:201], v[22:23], s[20:21], v[200:201]
	v_add_f64 v[62:63], v[202:203], v[62:63]
	v_add_f64 v[60:61], v[200:201], v[60:61]
	v_fma_f64 v[200:201], v[22:23], s[6:7], -v[24:25]
	v_fma_f64 v[22:23], v[22:23], s[6:7], v[24:25]
	v_add_f64 v[202:203], v[68:69], v[74:75]
	v_mul_f64 v[24:25], v[204:205], s[26:27]
	v_add_f64 v[70:71], v[200:201], v[70:71]
	v_add_f64 v[200:201], v[22:23], v[12:13]
	v_mul_f64 v[12:13], v[204:205], s[22:23]
	v_fma_f64 v[22:23], v[202:203], s[20:21], -v[12:13]
	v_fma_f64 v[12:13], v[202:203], s[20:21], v[12:13]
	v_add_f64 v[22:23], v[22:23], v[30:31]
	v_add_f64 v[12:13], v[12:13], v[26:27]
	v_fma_f64 v[26:27], v[202:203], s[4:5], -v[24:25]
	v_fma_f64 v[24:25], v[202:203], s[4:5], v[24:25]
	v_mul_f64 v[30:31], v[204:205], s[18:19]
	v_add_f64 v[26:27], v[26:27], v[34:35]
	v_add_f64 v[24:25], v[24:25], v[32:33]
	v_fma_f64 v[32:33], v[202:203], s[16:17], -v[30:31]
	v_fma_f64 v[30:31], v[202:203], s[16:17], v[30:31]
	v_add_f64 v[32:33], v[32:33], v[42:43]
	v_add_f64 v[30:31], v[30:31], v[40:41]
	v_mul_f64 v[40:41], v[204:205], s[34:35]
	v_fma_f64 v[34:35], v[202:203], s[6:7], -v[40:41]
	v_fma_f64 v[40:41], v[202:203], s[6:7], v[40:41]
	v_add_f64 v[34:35], v[34:35], v[62:63]
	v_add_f64 v[40:41], v[40:41], v[60:61]
	v_mul_f64 v[60:61], v[204:205], s[12:13]
	v_add_f64 v[62:63], v[14:15], v[174:175]
	v_fma_f64 v[42:43], v[202:203], s[14:15], -v[60:61]
	v_fma_f64 v[60:61], v[202:203], s[14:15], v[60:61]
	v_add_f64 v[62:63], v[62:63], v[146:147]
	v_add_f64 v[42:43], v[42:43], v[70:71]
	;; [unrolled: 1-line block ×3, first 2 shown]
	v_add_f64 v[200:201], v[172:173], -v[160:161]
	v_add_f64 v[70:71], v[174:175], v[164:165]
	v_add_f64 v[62:63], v[62:63], v[130:131]
	v_mul_f64 v[202:203], v[200:201], s[10:11]
	v_mul_f64 v[206:207], v[200:201], s[24:25]
	;; [unrolled: 1-line block ×5, first 2 shown]
	v_add_f64 v[62:63], v[62:63], v[80:81]
	v_fma_f64 v[204:205], v[70:71], s[4:5], -v[202:203]
	v_fma_f64 v[202:203], v[70:71], s[4:5], v[202:203]
	v_fma_f64 v[208:209], v[70:71], s[6:7], -v[206:207]
	v_fma_f64 v[206:207], v[70:71], s[6:7], v[206:207]
	;; [unrolled: 2-line block ×5, first 2 shown]
	v_add_f64 v[200:201], v[134:135], -v[148:149]
	v_add_f64 v[204:205], v[14:15], v[204:205]
	v_add_f64 v[202:203], v[14:15], v[202:203]
	;; [unrolled: 1-line block ×11, first 2 shown]
	v_mul_f64 v[236:237], v[200:201], s[24:25]
	v_add_f64 v[62:63], v[62:63], v[98:99]
	v_fma_f64 v[238:239], v[70:71], s[6:7], -v[236:237]
	v_fma_f64 v[236:237], v[70:71], s[6:7], v[236:237]
	v_add_f64 v[62:63], v[62:63], v[102:103]
	v_add_f64 v[204:205], v[238:239], v[204:205]
	v_add_f64 v[202:203], v[236:237], v[202:203]
	v_mul_f64 v[236:237], v[200:201], s[18:19]
	v_add_f64 v[62:63], v[62:63], v[108:109]
	v_fma_f64 v[238:239], v[70:71], s[16:17], -v[236:237]
	v_fma_f64 v[236:237], v[70:71], s[16:17], v[236:237]
	v_add_f64 v[62:63], v[62:63], v[144:145]
	v_add_f64 v[208:209], v[238:239], v[208:209]
	v_add_f64 v[206:207], v[236:237], v[206:207]
	;; [unrolled: 7-line block ×3, first 2 shown]
	v_mul_f64 v[236:237], v[200:201], s[28:29]
	v_mul_f64 v[200:201], v[200:201], s[26:27]
	v_fma_f64 v[238:239], v[70:71], s[14:15], -v[236:237]
	v_fma_f64 v[236:237], v[70:71], s[14:15], v[236:237]
	v_add_f64 v[216:217], v[238:239], v[216:217]
	v_add_f64 v[214:215], v[236:237], v[214:215]
	v_fma_f64 v[236:237], v[70:71], s[4:5], -v[200:201]
	v_fma_f64 v[70:71], v[70:71], s[4:5], v[200:201]
	v_add_f64 v[200:201], v[126:127], -v[140:141]
	v_add_f64 v[226:227], v[236:237], v[226:227]
	v_add_f64 v[14:15], v[70:71], v[14:15]
	;; [unrolled: 1-line block ×3, first 2 shown]
	v_mul_f64 v[236:237], v[200:201], s[12:13]
	v_fma_f64 v[238:239], v[70:71], s[14:15], -v[236:237]
	v_fma_f64 v[236:237], v[70:71], s[14:15], v[236:237]
	v_add_f64 v[204:205], v[238:239], v[204:205]
	v_add_f64 v[202:203], v[236:237], v[202:203]
	v_mul_f64 v[236:237], v[200:201], s[30:31]
	v_fma_f64 v[238:239], v[70:71], s[20:21], -v[236:237]
	v_fma_f64 v[236:237], v[70:71], s[20:21], v[236:237]
	v_add_f64 v[208:209], v[238:239], v[208:209]
	v_add_f64 v[206:207], v[236:237], v[206:207]
	;; [unrolled: 5-line block ×3, first 2 shown]
	v_mul_f64 v[236:237], v[200:201], s[10:11]
	v_mul_f64 v[200:201], v[200:201], s[18:19]
	v_fma_f64 v[238:239], v[70:71], s[4:5], -v[236:237]
	v_fma_f64 v[236:237], v[70:71], s[4:5], v[236:237]
	v_add_f64 v[216:217], v[238:239], v[216:217]
	v_add_f64 v[214:215], v[236:237], v[214:215]
	v_fma_f64 v[236:237], v[70:71], s[16:17], -v[200:201]
	v_fma_f64 v[70:71], v[70:71], s[16:17], v[200:201]
	v_add_f64 v[200:201], v[46:47], -v[104:105]
	v_add_f64 v[226:227], v[236:237], v[226:227]
	v_add_f64 v[14:15], v[70:71], v[14:15]
	;; [unrolled: 1-line block ×3, first 2 shown]
	v_mul_f64 v[236:237], v[200:201], s[18:19]
	v_fma_f64 v[238:239], v[70:71], s[16:17], -v[236:237]
	v_fma_f64 v[236:237], v[70:71], s[16:17], v[236:237]
	v_add_f64 v[204:205], v[238:239], v[204:205]
	v_add_f64 v[202:203], v[236:237], v[202:203]
	v_mul_f64 v[236:237], v[200:201], s[28:29]
	v_fma_f64 v[238:239], v[70:71], s[14:15], -v[236:237]
	v_fma_f64 v[236:237], v[70:71], s[14:15], v[236:237]
	v_add_f64 v[208:209], v[238:239], v[208:209]
	v_add_f64 v[206:207], v[236:237], v[206:207]
	;; [unrolled: 5-line block ×3, first 2 shown]
	v_mul_f64 v[236:237], v[200:201], s[22:23]
	v_mul_f64 v[200:201], v[200:201], s[34:35]
	v_fma_f64 v[238:239], v[70:71], s[20:21], -v[236:237]
	v_fma_f64 v[236:237], v[70:71], s[20:21], v[236:237]
	v_add_f64 v[216:217], v[238:239], v[216:217]
	v_add_f64 v[214:215], v[236:237], v[214:215]
	v_fma_f64 v[236:237], v[70:71], s[6:7], -v[200:201]
	v_fma_f64 v[70:71], v[70:71], s[6:7], v[200:201]
	v_add_f64 v[238:239], v[98:99], v[102:103]
	v_mul_f64 v[200:201], v[240:241], s[26:27]
	v_add_f64 v[226:227], v[236:237], v[226:227]
	v_add_f64 v[236:237], v[70:71], v[14:15]
	v_mul_f64 v[14:15], v[240:241], s[22:23]
	v_fma_f64 v[70:71], v[238:239], s[20:21], -v[14:15]
	v_fma_f64 v[14:15], v[238:239], s[20:21], v[14:15]
	v_add_f64 v[70:71], v[70:71], v[204:205]
	v_add_f64 v[14:15], v[14:15], v[202:203]
	v_fma_f64 v[202:203], v[238:239], s[4:5], -v[200:201]
	v_fma_f64 v[200:201], v[238:239], s[4:5], v[200:201]
	v_mul_f64 v[204:205], v[240:241], s[18:19]
	v_add_f64 v[202:203], v[202:203], v[208:209]
	v_add_f64 v[200:201], v[200:201], v[206:207]
	v_fma_f64 v[206:207], v[238:239], s[16:17], -v[204:205]
	v_fma_f64 v[204:205], v[238:239], s[16:17], v[204:205]
	v_add_f64 v[206:207], v[206:207], v[212:213]
	v_add_f64 v[204:205], v[204:205], v[210:211]
	v_mul_f64 v[210:211], v[240:241], s[34:35]
	v_fma_f64 v[208:209], v[238:239], s[6:7], -v[210:211]
	v_fma_f64 v[210:211], v[238:239], s[6:7], v[210:211]
	v_add_f64 v[208:209], v[208:209], v[216:217]
	v_add_f64 v[210:211], v[210:211], v[214:215]
	v_mul_f64 v[214:215], v[240:241], s[12:13]
	v_add_f64 v[216:217], v[8:9], v[136:137]
	v_fma_f64 v[212:213], v[238:239], s[14:15], -v[214:215]
	v_fma_f64 v[214:215], v[238:239], s[14:15], v[214:215]
	v_add_f64 v[216:217], v[216:217], v[120:121]
	v_add_f64 v[212:213], v[212:213], v[226:227]
	;; [unrolled: 1-line block ×3, first 2 shown]
	v_add_f64 v[236:237], v[132:133], -v[190:191]
	v_add_f64 v[226:227], v[136:137], v[192:193]
	v_add_f64 v[216:217], v[216:217], v[90:91]
	v_mul_f64 v[238:239], v[236:237], s[10:11]
	v_mul_f64 v[242:243], v[236:237], s[24:25]
	;; [unrolled: 1-line block ×5, first 2 shown]
	v_add_f64 v[216:217], v[216:217], v[52:53]
	v_fma_f64 v[240:241], v[226:227], s[4:5], -v[238:239]
	v_fma_f64 v[238:239], v[226:227], s[4:5], v[238:239]
	v_fma_f64 v[244:245], v[226:227], s[6:7], -v[242:243]
	v_fma_f64 v[242:243], v[226:227], s[6:7], v[242:243]
	;; [unrolled: 2-line block ×5, first 2 shown]
	v_add_f64 v[236:237], v[92:93], -v[38:39]
	v_add_f64 v[240:241], v[8:9], v[240:241]
	v_add_f64 v[238:239], v[8:9], v[238:239]
	;; [unrolled: 1-line block ×11, first 2 shown]
	v_mul_f64 v[224:225], v[236:237], s[24:25]
	v_add_f64 v[216:217], v[216:217], v[72:73]
	v_fma_f64 v[64:65], v[226:227], s[6:7], -v[224:225]
	v_fma_f64 v[224:225], v[226:227], s[6:7], v[224:225]
	v_add_f64 v[216:217], v[216:217], v[128:129]
	v_add_f64 v[64:65], v[64:65], v[240:241]
	v_add_f64 v[224:225], v[224:225], v[238:239]
	v_mul_f64 v[238:239], v[236:237], s[18:19]
	v_add_f64 v[216:217], v[216:217], v[184:185]
	v_fma_f64 v[240:241], v[226:227], s[16:17], -v[238:239]
	v_fma_f64 v[238:239], v[226:227], s[16:17], v[238:239]
	v_add_f64 v[216:217], v[216:217], v[186:187]
	v_add_f64 v[240:241], v[240:241], v[244:245]
	v_add_f64 v[238:239], v[238:239], v[242:243]
	;; [unrolled: 7-line block ×3, first 2 shown]
	v_mul_f64 v[246:247], v[236:237], s[28:29]
	v_mul_f64 v[236:237], v[236:237], s[26:27]
	v_fma_f64 v[248:249], v[226:227], s[14:15], -v[246:247]
	v_fma_f64 v[246:247], v[226:227], s[14:15], v[246:247]
	v_add_f64 v[248:249], v[248:249], v[252:253]
	v_add_f64 v[246:247], v[246:247], v[250:251]
	v_fma_f64 v[250:251], v[226:227], s[4:5], -v[236:237]
	v_fma_f64 v[226:227], v[226:227], s[4:5], v[236:237]
	v_add_f64 v[236:237], v[76:77], -v[44:45]
	v_add_f64 v[250:251], v[250:251], v[254:255]
	v_add_f64 v[8:9], v[226:227], v[8:9]
	v_add_f64 v[226:227], v[90:91], v[186:187]
	v_mul_f64 v[252:253], v[236:237], s[12:13]
	v_fma_f64 v[254:255], v[226:227], s[14:15], -v[252:253]
	v_fma_f64 v[252:253], v[226:227], s[14:15], v[252:253]
	v_add_f64 v[64:65], v[254:255], v[64:65]
	v_add_f64 v[224:225], v[252:253], v[224:225]
	v_mul_f64 v[252:253], v[236:237], s[30:31]
	v_fma_f64 v[254:255], v[226:227], s[20:21], -v[252:253]
	v_fma_f64 v[252:253], v[226:227], s[20:21], v[252:253]
	v_add_f64 v[240:241], v[254:255], v[240:241]
	v_add_f64 v[238:239], v[252:253], v[238:239]
	v_mul_f64 v[252:253], v[236:237], s[34:35]
	v_fma_f64 v[254:255], v[226:227], s[6:7], -v[252:253]
	v_fma_f64 v[252:253], v[226:227], s[6:7], v[252:253]
	v_add_f64 v[244:245], v[254:255], v[244:245]
	v_add_f64 v[242:243], v[252:253], v[242:243]
	v_mul_f64 v[252:253], v[236:237], s[10:11]
	v_mul_f64 v[236:237], v[236:237], s[18:19]
	v_fma_f64 v[254:255], v[226:227], s[4:5], -v[252:253]
	v_fma_f64 v[252:253], v[226:227], s[4:5], v[252:253]
	v_add_f64 v[248:249], v[254:255], v[248:249]
	v_add_f64 v[246:247], v[252:253], v[246:247]
	v_fma_f64 v[252:253], v[226:227], s[16:17], -v[236:237]
	v_fma_f64 v[226:227], v[226:227], s[16:17], v[236:237]
	v_add_f64 v[236:237], v[36:37], -v[54:55]
	v_add_f64 v[250:251], v[252:253], v[250:251]
	v_add_f64 v[8:9], v[226:227], v[8:9]
	v_add_f64 v[226:227], v[52:53], v[184:185]
	v_mul_f64 v[252:253], v[236:237], s[18:19]
	v_fma_f64 v[254:255], v[226:227], s[16:17], -v[252:253]
	v_fma_f64 v[252:253], v[226:227], s[16:17], v[252:253]
	v_add_f64 v[64:65], v[254:255], v[64:65]
	v_add_f64 v[224:225], v[252:253], v[224:225]
	v_mul_f64 v[252:253], v[236:237], s[28:29]
	v_fma_f64 v[254:255], v[226:227], s[14:15], -v[252:253]
	v_fma_f64 v[252:253], v[226:227], s[14:15], v[252:253]
	v_add_f64 v[240:241], v[254:255], v[240:241]
	v_add_f64 v[238:239], v[252:253], v[238:239]
	v_mul_f64 v[252:253], v[236:237], s[10:11]
	v_fma_f64 v[254:255], v[226:227], s[4:5], -v[252:253]
	v_fma_f64 v[252:253], v[226:227], s[4:5], v[252:253]
	v_add_f64 v[244:245], v[254:255], v[244:245]
	v_add_f64 v[242:243], v[252:253], v[242:243]
	;; [unrolled: 27-line block ×3, first 2 shown]
	v_mul_f64 v[252:253], v[236:237], s[34:35]
	v_mul_f64 v[236:237], v[236:237], s[12:13]
	v_fma_f64 v[254:255], v[226:227], s[6:7], -v[252:253]
	v_fma_f64 v[252:253], v[226:227], s[6:7], v[252:253]
	v_add_f64 v[248:249], v[254:255], v[248:249]
	v_add_f64 v[246:247], v[252:253], v[246:247]
	v_fma_f64 v[252:253], v[226:227], s[14:15], -v[236:237]
	v_fma_f64 v[226:227], v[226:227], s[14:15], v[236:237]
	v_add_f64 v[250:251], v[252:253], v[250:251]
	v_add_f64 v[236:237], v[226:227], v[8:9]
	v_mov_b32_e32 v8, 3
	v_mul_u32_u24_e32 v9, 0x268, v230
	v_lshlrev_b32_sdwa v122, v8, v231 dst_sel:DWORD dst_unused:UNUSED_PAD src0_sel:DWORD src1_sel:BYTE_0
	v_add3_u32 v226, 0, v9, v122
	ds_write2_b64 v226, v[20:21], v[22:23] offset1:7
	ds_write2_b64 v226, v[26:27], v[32:33] offset0:14 offset1:21
	ds_write2_b64 v226, v[34:35], v[42:43] offset0:28 offset1:35
	ds_write2_b64 v226, v[60:61], v[40:41] offset0:42 offset1:49
	ds_write2_b64 v226, v[30:31], v[24:25] offset0:56 offset1:63
	ds_write_b64 v226, v[12:13] offset:560
	v_mul_u32_u24_e32 v9, 0x268, v232
	v_lshlrev_b32_sdwa v12, v8, v233 dst_sel:DWORD dst_unused:UNUSED_PAD src0_sel:DWORD src1_sel:BYTE_0
	v_add3_u32 v227, 0, v9, v12
	v_mul_u32_u24_e32 v9, 0x268, v234
	v_lshlrev_b32_sdwa v12, v8, v235 dst_sel:DWORD dst_unused:UNUSED_PAD src0_sel:DWORD src1_sel:BYTE_0
	ds_write2_b64 v227, v[62:63], v[70:71] offset1:7
	ds_write2_b64 v227, v[202:203], v[206:207] offset0:14 offset1:21
	ds_write2_b64 v227, v[208:209], v[212:213] offset0:28 offset1:35
	;; [unrolled: 1-line block ×4, first 2 shown]
	ds_write_b64 v227, v[14:15] offset:560
	v_add3_u32 v200, 0, v9, v12
	ds_write2_b64 v200, v[216:217], v[64:65] offset1:7
	ds_write2_b64 v200, v[240:241], v[244:245] offset0:14 offset1:21
	ds_write2_b64 v200, v[248:249], v[250:251] offset0:28 offset1:35
	;; [unrolled: 1-line block ×4, first 2 shown]
	ds_write_b64 v200, v[224:225] offset:560
	s_and_saveexec_b64 s[36:37], s[0:1]
	s_cbranch_execz .LBB0_17
; %bb.16:
	buffer_load_dword v24, off, s[40:43], 0 offset:8 ; 4-byte Folded Reload
	buffer_load_dword v25, off, s[40:43], 0 offset:12 ; 4-byte Folded Reload
	v_add_f64 v[12:13], v[180:181], -v[18:19]
	v_add_f64 v[30:31], v[110:111], -v[194:195]
	v_add_f64 v[32:33], v[178:179], v[198:199]
	v_add_f64 v[26:27], v[84:85], -v[16:17]
	v_add_f64 v[42:43], v[106:107], v[196:197]
	v_add_f64 v[40:41], v[94:95], v[182:183]
	v_add_f64 v[20:21], v[66:67], -v[86:87]
	v_add_f64 v[22:23], v[82:83], v[219:220]
	v_mul_f64 v[34:35], v[12:13], s[22:23]
	v_mul_f64 v[60:61], v[12:13], s[18:19]
	;; [unrolled: 1-line block ×6, first 2 shown]
	v_add_f64 v[14:15], v[96:97], v[100:101]
	v_mul_f64 v[62:63], v[20:21], s[12:13]
	v_fma_f64 v[203:204], v[32:33], s[20:21], v[34:35]
	v_fma_f64 v[34:35], v[32:33], s[20:21], -v[34:35]
	v_fma_f64 v[207:208], v[32:33], s[16:17], v[60:61]
	v_fma_f64 v[213:214], v[42:43], s[4:5], v[70:71]
	v_fma_f64 v[70:71], v[42:43], s[4:5], -v[70:71]
	v_fma_f64 v[215:216], v[42:43], s[14:15], v[205:206]
	v_fma_f64 v[231:232], v[40:41], s[16:17], v[201:202]
	v_fma_f64 v[201:202], v[40:41], s[16:17], -v[201:202]
	v_add_f64 v[203:204], v[28:29], v[203:204]
	v_add_f64 v[34:35], v[28:29], v[34:35]
	;; [unrolled: 1-line block ×3, first 2 shown]
	v_mul_f64 v[209:210], v[20:21], s[34:35]
	v_fma_f64 v[60:61], v[32:33], s[16:17], -v[60:61]
	v_mov_b32_e32 v9, v229
	v_mul_f64 v[229:230], v[26:27], s[34:35]
	v_lshlrev_b32_sdwa v8, v8, v228 dst_sel:DWORD dst_unused:UNUSED_PAD src0_sel:DWORD src1_sel:BYTE_0
	v_add_f64 v[203:204], v[213:214], v[203:204]
	v_add_f64 v[34:35], v[70:71], v[34:35]
	v_fma_f64 v[70:71], v[40:41], s[4:5], v[211:212]
	v_add_f64 v[207:208], v[215:216], v[207:208]
	v_mul_f64 v[215:216], v[12:13], s[12:13]
	v_mul_f64 v[213:214], v[30:31], s[30:31]
	v_add_f64 v[60:61], v[28:29], v[60:61]
	v_add_f64 v[203:204], v[231:232], v[203:204]
	;; [unrolled: 1-line block ×4, first 2 shown]
	v_fma_f64 v[207:208], v[14:15], s[14:15], v[62:63]
	v_fma_f64 v[62:63], v[14:15], s[14:15], -v[62:63]
	v_fma_f64 v[231:232], v[32:33], s[14:15], v[215:216]
	v_add_f64 v[231:232], v[28:29], v[231:232]
	s_waitcnt vmcnt(0)
	v_add_f64 v[24:25], v[24:25], -v[112:113]
	v_mul_f64 v[64:65], v[24:25], s[34:35]
	v_mul_f64 v[224:225], v[24:25], s[22:23]
	v_fma_f64 v[233:234], v[22:23], s[6:7], v[64:65]
	v_fma_f64 v[64:65], v[22:23], s[6:7], -v[64:65]
	v_fma_f64 v[201:202], v[22:23], s[20:21], v[224:225]
	v_add_f64 v[203:204], v[233:234], v[203:204]
	v_add_f64 v[34:35], v[64:65], v[34:35]
	v_fma_f64 v[64:65], v[14:15], s[6:7], v[209:210]
	v_add_f64 v[70:71], v[201:202], v[70:71]
	v_fma_f64 v[201:202], v[42:43], s[14:15], -v[205:206]
	v_fma_f64 v[205:206], v[42:43], s[20:21], v[213:214]
	v_mul_f64 v[233:234], v[26:27], s[30:31]
	v_mul_f64 v[26:27], v[26:27], s[12:13]
	v_add_f64 v[203:204], v[207:208], v[203:204]
	v_add_f64 v[34:35], v[62:63], v[34:35]
	v_fma_f64 v[62:63], v[32:33], s[14:15], -v[215:216]
	v_add_f64 v[64:65], v[64:65], v[70:71]
	v_fma_f64 v[70:71], v[40:41], s[4:5], -v[211:212]
	v_add_f64 v[60:61], v[201:202], v[60:61]
	v_fma_f64 v[207:208], v[40:41], s[6:7], v[229:230]
	v_add_f64 v[205:206], v[205:206], v[231:232]
	v_fma_f64 v[211:212], v[42:43], s[20:21], -v[213:214]
	v_add_f64 v[215:216], v[28:29], v[178:179]
	v_add_f64 v[62:63], v[28:29], v[62:63]
	v_mul_f64 v[201:202], v[24:25], s[10:11]
	v_fma_f64 v[213:214], v[22:23], s[20:21], -v[224:225]
	v_add_f64 v[60:61], v[70:71], v[60:61]
	v_mul_f64 v[231:232], v[24:25], s[28:29]
	v_add_f64 v[205:206], v[207:208], v[205:206]
	v_fma_f64 v[207:208], v[40:41], s[6:7], -v[229:230]
	v_mul_f64 v[24:25], v[24:25], s[18:19]
	v_add_f64 v[62:63], v[211:212], v[62:63]
	v_add_f64 v[211:212], v[215:216], v[106:107]
	v_fma_f64 v[224:225], v[22:23], s[4:5], v[201:202]
	v_add_f64 v[60:61], v[213:214], v[60:61]
	v_mul_f64 v[213:214], v[12:13], s[24:25]
	v_fma_f64 v[201:202], v[22:23], s[4:5], -v[201:202]
	v_mul_f64 v[12:13], v[12:13], s[10:11]
	v_fma_f64 v[239:240], v[40:41], s[20:21], v[233:234]
	v_add_f64 v[62:63], v[207:208], v[62:63]
	v_add_f64 v[207:208], v[211:212], v[94:95]
	;; [unrolled: 1-line block ×3, first 2 shown]
	v_mul_f64 v[211:212], v[30:31], s[18:19]
	v_fma_f64 v[224:225], v[32:33], s[6:7], v[213:214]
	v_mul_f64 v[30:31], v[30:31], s[24:25]
	v_fma_f64 v[241:242], v[32:33], s[4:5], -v[12:13]
	v_fma_f64 v[213:214], v[32:33], s[6:7], -v[213:214]
	v_add_f64 v[62:63], v[201:202], v[62:63]
	v_add_f64 v[201:202], v[207:208], v[82:83]
	v_fma_f64 v[12:13], v[32:33], s[4:5], v[12:13]
	v_fma_f64 v[207:208], v[42:43], s[16:17], v[211:212]
	v_add_f64 v[224:225], v[28:29], v[224:225]
	v_fma_f64 v[32:33], v[42:43], s[6:7], -v[30:31]
	v_fma_f64 v[211:212], v[42:43], s[16:17], -v[211:212]
	v_add_f64 v[213:214], v[28:29], v[213:214]
	v_fma_f64 v[30:31], v[42:43], s[6:7], v[30:31]
	v_add_f64 v[201:202], v[201:202], v[96:97]
	v_add_f64 v[12:13], v[28:29], v[12:13]
	v_fma_f64 v[233:234], v[40:41], s[20:21], -v[233:234]
	v_add_f64 v[207:208], v[207:208], v[224:225]
	v_add_f64 v[224:225], v[28:29], v[241:242]
	v_fma_f64 v[28:29], v[40:41], s[14:15], -v[26:27]
	v_fma_f64 v[26:27], v[40:41], s[14:15], v[26:27]
	v_mul_f64 v[70:71], v[20:21], s[18:19]
	v_add_f64 v[201:202], v[201:202], v[100:101]
	v_add_f64 v[12:13], v[30:31], v[12:13]
	v_mul_f64 v[229:230], v[20:21], s[26:27]
	v_mul_f64 v[20:21], v[20:21], s[22:23]
	v_add_f64 v[32:33], v[32:33], v[224:225]
	v_fma_f64 v[30:31], v[22:23], s[16:17], -v[24:25]
	v_fma_f64 v[237:238], v[22:23], s[14:15], v[231:232]
	v_fma_f64 v[215:216], v[14:15], s[16:17], v[70:71]
	v_add_f64 v[42:43], v[201:202], v[219:220]
	v_add_f64 v[201:202], v[211:212], v[213:214]
	v_fma_f64 v[211:212], v[22:23], s[14:15], -v[231:232]
	v_fma_f64 v[22:23], v[22:23], s[16:17], v[24:25]
	v_add_f64 v[28:29], v[28:29], v[32:33]
	v_add_f64 v[12:13], v[26:27], v[12:13]
	v_fma_f64 v[26:27], v[14:15], s[20:21], -v[20:21]
	v_fma_f64 v[70:71], v[14:15], s[16:17], -v[70:71]
	v_add_f64 v[32:33], v[42:43], v[182:183]
	v_add_f64 v[40:41], v[233:234], v[201:202]
	;; [unrolled: 1-line block ×3, first 2 shown]
	v_fma_f64 v[24:25], v[14:15], s[4:5], -v[229:230]
	v_add_f64 v[28:29], v[30:31], v[28:29]
	v_fma_f64 v[209:210], v[14:15], s[6:7], -v[209:210]
	v_fma_f64 v[235:236], v[14:15], s[4:5], v[229:230]
	v_fma_f64 v[14:15], v[14:15], s[20:21], v[20:21]
	v_add_f64 v[30:31], v[32:33], v[196:197]
	v_add_f64 v[32:33], v[211:212], v[40:41]
	;; [unrolled: 1-line block ×7, first 2 shown]
	v_mov_b32_e32 v229, v9
	v_add_f64 v[28:29], v[30:31], v[198:199]
	v_add_f64 v[24:25], v[24:25], v[32:33]
	;; [unrolled: 1-line block ×5, first 2 shown]
	v_mul_u32_u24_e32 v9, 0x268, v218
	v_add3_u32 v8, 0, v9, v8
	ds_write2_b64 v8, v[28:29], v[26:27] offset1:7
	ds_write2_b64 v8, v[24:25], v[22:23] offset0:14 offset1:21
	ds_write2_b64 v8, v[20:21], v[34:35] offset0:28 offset1:35
	;; [unrolled: 1-line block ×4, first 2 shown]
	ds_write_b64 v8, v[12:13] offset:560
.LBB0_17:
	s_or_b64 exec, exec, s[36:37]
	v_add_f64 v[8:9], v[4:5], v[170:171]
	v_add_f64 v[12:13], v[168:169], -v[176:177]
	v_add_f64 v[14:15], v[170:171], v[118:119]
	v_add_f64 v[22:23], v[166:167], -v[158:159]
	;; [unrolled: 2-line block ×3, first 2 shown]
	v_add_f64 v[24:25], v[150:151], v[142:143]
	s_waitcnt lgkmcnt(0)
	v_add_f64 v[8:9], v[8:9], v[154:155]
	v_mul_f64 v[28:29], v[12:13], s[10:11]
	v_mul_f64 v[30:31], v[12:13], s[24:25]
	;; [unrolled: 1-line block ×7, first 2 shown]
	v_add_f64 v[8:9], v[8:9], v[150:151]
	v_fma_f64 v[154:155], v[14:15], s[4:5], v[28:29]
	v_fma_f64 v[28:29], v[14:15], s[4:5], -v[28:29]
	v_mul_f64 v[60:61], v[22:23], s[30:31]
	v_mul_f64 v[62:63], v[22:23], s[28:29]
	;; [unrolled: 1-line block ×4, first 2 shown]
	v_fma_f64 v[156:157], v[14:15], s[6:7], v[30:31]
	v_add_f64 v[8:9], v[8:9], v[78:79]
	v_fma_f64 v[30:31], v[14:15], s[6:7], -v[30:31]
	v_fma_f64 v[158:159], v[14:15], s[14:15], v[32:33]
	v_fma_f64 v[32:33], v[14:15], s[14:15], -v[32:33]
	v_fma_f64 v[162:163], v[14:15], s[16:17], v[34:35]
	;; [unrolled: 2-line block ×3, first 2 shown]
	v_fma_f64 v[12:13], v[14:15], s[20:21], -v[12:13]
	v_add_f64 v[8:9], v[8:9], v[2:3]
	v_fma_f64 v[14:15], v[20:21], s[6:7], v[40:41]
	v_fma_f64 v[40:41], v[20:21], s[6:7], -v[40:41]
	v_add_f64 v[154:155], v[4:5], v[154:155]
	v_add_f64 v[28:29], v[4:5], v[28:29]
	v_mul_f64 v[70:71], v[26:27], s[30:31]
	v_mul_f64 v[150:151], v[26:27], s[34:35]
	v_fma_f64 v[168:169], v[20:21], s[16:17], v[42:43]
	v_add_f64 v[8:9], v[8:9], v[10:11]
	v_fma_f64 v[42:43], v[20:21], s[16:17], -v[42:43]
	v_fma_f64 v[170:171], v[20:21], s[20:21], v[60:61]
	v_fma_f64 v[60:61], v[20:21], s[20:21], -v[60:61]
	v_fma_f64 v[176:177], v[20:21], s[14:15], v[62:63]
	;; [unrolled: 2-line block ×3, first 2 shown]
	v_fma_f64 v[20:21], v[20:21], s[4:5], -v[22:23]
	v_add_f64 v[8:9], v[8:9], v[50:51]
	v_fma_f64 v[22:23], v[24:25], s[14:15], v[64:65]
	v_fma_f64 v[64:65], v[24:25], s[14:15], -v[64:65]
	v_add_f64 v[156:157], v[4:5], v[156:157]
	v_add_f64 v[30:31], v[4:5], v[30:31]
	;; [unrolled: 1-line block ×18, first 2 shown]
	v_fma_f64 v[20:21], v[24:25], s[20:21], -v[70:71]
	v_fma_f64 v[22:23], v[24:25], s[6:7], v[150:151]
	v_add_f64 v[14:15], v[64:65], v[14:15]
	v_add_f64 v[118:119], v[8:9], v[118:119]
	v_mul_f64 v[8:9], v[26:27], s[10:11]
	v_add_f64 v[62:63], v[124:125], -v[114:115]
	v_mul_f64 v[26:27], v[26:27], s[18:19]
	v_fma_f64 v[64:65], v[24:25], s[6:7], -v[150:151]
	v_fma_f64 v[203:204], v[24:25], s[20:21], v[70:71]
	v_add_f64 v[60:61], v[201:202], v[142:143]
	v_add_f64 v[20:21], v[20:21], v[30:31]
	;; [unrolled: 1-line block ×3, first 2 shown]
	v_fma_f64 v[70:71], v[24:25], s[4:5], v[8:9]
	v_fma_f64 v[8:9], v[24:25], s[4:5], -v[8:9]
	v_add_f64 v[30:31], v[78:79], v[50:51]
	v_mul_f64 v[40:41], v[62:63], s[18:19]
	v_fma_f64 v[50:51], v[24:25], s[16:17], v[26:27]
	v_add_f64 v[32:33], v[64:65], v[32:33]
	v_add_f64 v[64:65], v[6:7], v[172:173]
	;; [unrolled: 1-line block ×3, first 2 shown]
	v_fma_f64 v[24:25], v[24:25], s[16:17], -v[26:27]
	v_add_f64 v[8:9], v[8:9], v[34:35]
	v_add_f64 v[28:29], v[168:169], v[156:157]
	v_fma_f64 v[26:27], v[30:31], s[16:17], v[40:41]
	v_add_f64 v[34:35], v[50:51], v[60:61]
	v_fma_f64 v[40:41], v[30:31], s[16:17], -v[40:41]
	v_mul_f64 v[50:51], v[62:63], s[10:11]
	v_add_f64 v[60:61], v[64:65], v[134:135]
	v_add_f64 v[42:43], v[70:71], v[42:43]
	v_mul_f64 v[70:71], v[62:63], s[28:29]
	v_add_f64 v[28:29], v[203:204], v[28:29]
	v_add_f64 v[12:13], v[26:27], v[12:13]
	;; [unrolled: 1-line block ×4, first 2 shown]
	v_fma_f64 v[26:27], v[30:31], s[4:5], v[50:51]
	v_add_f64 v[40:41], v[60:61], v[126:127]
	v_mul_f64 v[24:25], v[62:63], s[22:23]
	v_fma_f64 v[64:65], v[30:31], s[14:15], v[70:71]
	v_add_f64 v[60:61], v[68:69], -v[74:75]
	v_mul_f64 v[62:63], v[62:63], s[34:35]
	v_add_f64 v[2:3], v[2:3], v[10:11]
	v_fma_f64 v[70:71], v[30:31], s[14:15], -v[70:71]
	v_add_f64 v[22:23], v[26:27], v[22:23]
	v_add_f64 v[26:27], v[40:41], v[46:47]
	v_fma_f64 v[50:51], v[30:31], s[4:5], -v[50:51]
	v_add_f64 v[28:29], v[64:65], v[28:29]
	v_fma_f64 v[64:65], v[30:31], s[20:21], v[24:25]
	v_fma_f64 v[24:25], v[30:31], s[20:21], -v[24:25]
	v_mul_f64 v[10:11], v[60:61], s[22:23]
	v_add_f64 v[20:21], v[70:71], v[20:21]
	; wave barrier
	v_add_f64 v[26:27], v[26:27], v[56:57]
	v_add_f64 v[32:33], v[50:51], v[32:33]
	v_mul_f64 v[50:51], v[60:61], s[26:27]
	v_add_f64 v[40:41], v[64:65], v[42:43]
	v_fma_f64 v[42:43], v[30:31], s[6:7], v[62:63]
	v_add_f64 v[8:9], v[24:25], v[8:9]
	v_fma_f64 v[24:25], v[30:31], s[6:7], -v[62:63]
	v_fma_f64 v[30:31], v[2:3], s[20:21], v[10:11]
	v_fma_f64 v[10:11], v[2:3], s[20:21], -v[10:11]
	v_add_f64 v[26:27], v[26:27], v[88:89]
	v_mul_f64 v[62:63], v[60:61], s[18:19]
	v_add_u32_e32 v122, 0x1000, v223
	v_add_f64 v[34:35], v[42:43], v[34:35]
	v_fma_f64 v[42:43], v[2:3], s[4:5], v[50:51]
	v_fma_f64 v[50:51], v[2:3], s[4:5], -v[50:51]
	v_add_f64 v[4:5], v[24:25], v[4:5]
	v_add_f64 v[78:79], v[10:11], v[14:15]
	;; [unrolled: 1-line block ×4, first 2 shown]
	v_fma_f64 v[10:11], v[2:3], s[16:17], v[62:63]
	v_mul_f64 v[12:13], v[60:61], s[34:35]
	v_mul_f64 v[24:25], v[60:61], s[12:13]
	v_add_f64 v[124:125], v[50:51], v[20:21]
	v_add_f64 v[20:21], v[174:175], -v[164:165]
	v_add_f64 v[138:139], v[42:43], v[28:29]
	v_add_f64 v[14:15], v[14:15], v[140:141]
	v_fma_f64 v[26:27], v[2:3], s[16:17], -v[62:63]
	v_add_f64 v[142:143], v[10:11], v[22:23]
	v_fma_f64 v[10:11], v[2:3], s[6:7], v[12:13]
	v_fma_f64 v[12:13], v[2:3], s[6:7], -v[12:13]
	v_add_f64 v[22:23], v[172:173], v[160:161]
	v_mul_f64 v[28:29], v[20:21], s[10:11]
	v_fma_f64 v[30:31], v[2:3], s[14:15], v[24:25]
	v_add_f64 v[14:15], v[14:15], v[148:149]
	v_fma_f64 v[2:3], v[2:3], s[14:15], -v[24:25]
	v_add_f64 v[24:25], v[146:147], -v[152:153]
	v_add_f64 v[150:151], v[26:27], v[32:33]
	v_add_f64 v[154:155], v[10:11], v[40:41]
	v_mul_f64 v[10:11], v[20:21], s[24:25]
	v_add_f64 v[156:157], v[12:13], v[8:9]
	v_fma_f64 v[8:9], v[22:23], s[4:5], v[28:29]
	v_add_f64 v[160:161], v[14:15], v[160:161]
	v_mul_f64 v[14:15], v[20:21], s[18:19]
	v_add_f64 v[158:159], v[30:31], v[34:35]
	v_fma_f64 v[12:13], v[22:23], s[4:5], -v[28:29]
	v_add_f64 v[162:163], v[2:3], v[4:5]
	v_mul_f64 v[2:3], v[20:21], s[12:13]
	v_mul_f64 v[20:21], v[20:21], s[22:23]
	v_add_f64 v[30:31], v[134:135], v[148:149]
	v_mul_f64 v[32:33], v[24:25], s[24:25]
	v_fma_f64 v[28:29], v[22:23], s[16:17], v[14:15]
	v_fma_f64 v[4:5], v[22:23], s[6:7], v[10:11]
	v_fma_f64 v[10:11], v[22:23], s[6:7], -v[10:11]
	v_add_f64 v[8:9], v[6:7], v[8:9]
	v_add_f64 v[12:13], v[6:7], v[12:13]
	v_fma_f64 v[26:27], v[22:23], s[14:15], v[2:3]
	v_fma_f64 v[2:3], v[22:23], s[14:15], -v[2:3]
	v_fma_f64 v[14:15], v[22:23], s[16:17], -v[14:15]
	v_fma_f64 v[34:35], v[22:23], s[20:21], v[20:21]
	v_mul_f64 v[40:41], v[24:25], s[18:19]
	v_fma_f64 v[20:21], v[22:23], s[20:21], -v[20:21]
	v_add_f64 v[22:23], v[6:7], v[28:29]
	v_fma_f64 v[28:29], v[30:31], s[6:7], v[32:33]
	v_fma_f64 v[32:33], v[30:31], s[6:7], -v[32:33]
	v_add_f64 v[4:5], v[6:7], v[4:5]
	v_add_f64 v[10:11], v[6:7], v[10:11]
	;; [unrolled: 1-line block ×6, first 2 shown]
	v_fma_f64 v[42:43], v[30:31], s[16:17], v[40:41]
	v_mul_f64 v[50:51], v[24:25], s[30:31]
	v_add_f64 v[6:7], v[6:7], v[20:21]
	v_fma_f64 v[20:21], v[30:31], s[16:17], -v[40:41]
	v_add_f64 v[8:9], v[28:29], v[8:9]
	v_add_f64 v[12:13], v[32:33], v[12:13]
	v_add_f64 v[28:29], v[130:131], -v[144:145]
	v_mul_f64 v[32:33], v[24:25], s[28:29]
	v_add_f64 v[4:5], v[42:43], v[4:5]
	v_fma_f64 v[40:41], v[30:31], s[20:21], v[50:51]
	v_fma_f64 v[42:43], v[30:31], s[20:21], -v[50:51]
	v_add_f64 v[10:11], v[20:21], v[10:11]
	v_mul_f64 v[20:21], v[24:25], s[26:27]
	v_add_f64 v[24:25], v[126:127], v[140:141]
	v_mul_f64 v[50:51], v[28:29], s[12:13]
	v_fma_f64 v[60:61], v[30:31], s[14:15], v[32:33]
	v_fma_f64 v[32:33], v[30:31], s[14:15], -v[32:33]
	v_add_f64 v[26:27], v[40:41], v[26:27]
	v_add_f64 v[2:3], v[42:43], v[2:3]
	v_mul_f64 v[40:41], v[28:29], s[30:31]
	v_fma_f64 v[42:43], v[30:31], s[4:5], v[20:21]
	v_fma_f64 v[20:21], v[30:31], s[4:5], -v[20:21]
	v_fma_f64 v[30:31], v[24:25], s[14:15], v[50:51]
	v_add_f64 v[22:23], v[60:61], v[22:23]
	v_add_f64 v[14:15], v[32:33], v[14:15]
	v_mul_f64 v[32:33], v[28:29], s[34:35]
	v_fma_f64 v[50:51], v[24:25], s[14:15], -v[50:51]
	v_fma_f64 v[60:61], v[24:25], s[20:21], v[40:41]
	v_add_f64 v[34:35], v[42:43], v[34:35]
	v_add_f64 v[6:7], v[20:21], v[6:7]
	;; [unrolled: 1-line block ×3, first 2 shown]
	v_fma_f64 v[20:21], v[24:25], s[20:21], -v[40:41]
	v_mul_f64 v[30:31], v[28:29], s[10:11]
	v_fma_f64 v[40:41], v[24:25], s[6:7], v[32:33]
	v_add_f64 v[42:43], v[80:81], -v[108:109]
	v_fma_f64 v[32:33], v[24:25], s[6:7], -v[32:33]
	v_mul_f64 v[28:29], v[28:29], s[18:19]
	v_add_f64 v[12:13], v[50:51], v[12:13]
	v_add_f64 v[4:5], v[60:61], v[4:5]
	;; [unrolled: 1-line block ×3, first 2 shown]
	v_fma_f64 v[20:21], v[24:25], s[4:5], v[30:31]
	v_add_f64 v[26:27], v[40:41], v[26:27]
	v_add_f64 v[40:41], v[46:47], v[104:105]
	v_mul_f64 v[46:47], v[42:43], s[18:19]
	v_add_f64 v[2:3], v[32:33], v[2:3]
	v_add_f64 v[32:33], v[0:1], v[132:133]
	v_fma_f64 v[30:31], v[24:25], s[4:5], -v[30:31]
	v_fma_f64 v[50:51], v[24:25], s[16:17], v[28:29]
	v_add_f64 v[20:21], v[20:21], v[22:23]
	v_mul_f64 v[22:23], v[42:43], s[28:29]
	v_fma_f64 v[24:25], v[24:25], s[16:17], -v[28:29]
	v_fma_f64 v[28:29], v[40:41], s[16:17], v[46:47]
	v_add_u32_e32 v130, 0x800, v223
	v_add_f64 v[32:33], v[32:33], v[92:93]
	v_add_f64 v[14:15], v[30:31], v[14:15]
	;; [unrolled: 1-line block ×3, first 2 shown]
	v_fma_f64 v[34:35], v[40:41], s[16:17], -v[46:47]
	v_mul_f64 v[46:47], v[42:43], s[10:11]
	v_fma_f64 v[50:51], v[40:41], s[14:15], v[22:23]
	v_fma_f64 v[22:23], v[40:41], s[14:15], -v[22:23]
	v_add_f64 v[6:7], v[24:25], v[6:7]
	v_add_f64 v[8:9], v[28:29], v[8:9]
	v_mul_f64 v[24:25], v[42:43], s[22:23]
	v_add_f64 v[28:29], v[32:33], v[76:77]
	v_add_f64 v[12:13], v[34:35], v[12:13]
	v_fma_f64 v[32:33], v[40:41], s[4:5], v[46:47]
	v_fma_f64 v[34:35], v[40:41], s[4:5], -v[46:47]
	v_add_f64 v[10:11], v[22:23], v[10:11]
	v_add_f64 v[22:23], v[98:99], -v[102:103]
	v_mul_f64 v[42:43], v[42:43], s[34:35]
	v_fma_f64 v[46:47], v[40:41], s[20:21], v[24:25]
	v_add_f64 v[28:29], v[28:29], v[36:37]
	v_add_f64 v[4:5], v[50:51], v[4:5]
	;; [unrolled: 1-line block ×3, first 2 shown]
	v_fma_f64 v[24:25], v[40:41], s[20:21], -v[24:25]
	v_add_f64 v[32:33], v[56:57], v[88:89]
	v_mul_f64 v[50:51], v[22:23], s[22:23]
	v_add_f64 v[2:3], v[34:35], v[2:3]
	v_add_f64 v[20:21], v[46:47], v[20:21]
	v_fma_f64 v[34:35], v[40:41], s[6:7], v[42:43]
	v_add_f64 v[28:29], v[28:29], v[58:59]
	v_mul_f64 v[46:47], v[22:23], s[26:27]
	v_fma_f64 v[40:41], v[40:41], s[6:7], -v[42:43]
	v_add_f64 v[14:15], v[24:25], v[14:15]
	v_fma_f64 v[24:25], v[32:33], s[20:21], v[50:51]
	v_fma_f64 v[42:43], v[32:33], s[20:21], -v[50:51]
	v_mul_f64 v[50:51], v[22:23], s[18:19]
	v_add_f64 v[30:31], v[34:35], v[30:31]
	v_add_f64 v[28:29], v[28:29], v[48:49]
	v_fma_f64 v[34:35], v[32:33], s[4:5], v[46:47]
	v_add_f64 v[6:7], v[40:41], v[6:7]
	v_fma_f64 v[40:41], v[32:33], s[4:5], -v[46:47]
	v_add_f64 v[64:65], v[24:25], v[8:9]
	v_add_f64 v[88:89], v[42:43], v[12:13]
	v_fma_f64 v[8:9], v[32:33], s[16:17], v[50:51]
	v_mul_f64 v[12:13], v[22:23], s[34:35]
	v_add_f64 v[24:25], v[28:29], v[54:55]
	v_add_f64 v[98:99], v[34:35], v[4:5]
	v_add_f64 v[4:5], v[136:137], -v[192:193]
	v_add_f64 v[102:103], v[40:41], v[10:11]
	v_fma_f64 v[10:11], v[32:33], s[16:17], -v[50:51]
	v_mul_f64 v[22:23], v[22:23], s[12:13]
	v_add_f64 v[104:105], v[8:9], v[26:27]
	v_fma_f64 v[8:9], v[32:33], s[6:7], v[12:13]
	v_add_f64 v[24:25], v[24:25], v[44:45]
	v_add_f64 v[26:27], v[132:133], v[190:191]
	v_mul_f64 v[28:29], v[4:5], s[10:11]
	v_fma_f64 v[12:13], v[32:33], s[6:7], -v[12:13]
	v_add_f64 v[108:109], v[10:11], v[2:3]
	v_fma_f64 v[10:11], v[32:33], s[14:15], -v[22:23]
	v_fma_f64 v[2:3], v[32:33], s[14:15], v[22:23]
	v_add_f64 v[136:137], v[8:9], v[20:21]
	v_add_f64 v[8:9], v[24:25], v[38:39]
	v_mul_f64 v[22:23], v[4:5], s[24:25]
	v_fma_f64 v[20:21], v[26:27], s[4:5], v[28:29]
	v_add_f64 v[140:141], v[12:13], v[14:15]
	v_add_f64 v[14:15], v[120:121], -v[188:189]
	v_fma_f64 v[12:13], v[26:27], s[4:5], -v[28:29]
	v_add_f64 v[146:147], v[10:11], v[6:7]
	v_mul_f64 v[6:7], v[4:5], s[12:13]
	v_add_f64 v[148:149], v[8:9], v[190:191]
	v_add_f64 v[24:25], v[92:93], v[38:39]
	;; [unrolled: 1-line block ×3, first 2 shown]
	v_mul_f64 v[20:21], v[4:5], s[18:19]
	v_mul_f64 v[4:5], v[4:5], s[22:23]
	;; [unrolled: 1-line block ×3, first 2 shown]
	v_add_f64 v[144:145], v[2:3], v[30:31]
	v_fma_f64 v[2:3], v[26:27], s[6:7], v[22:23]
	v_fma_f64 v[10:11], v[26:27], s[6:7], -v[22:23]
	v_add_f64 v[12:13], v[0:1], v[12:13]
	v_fma_f64 v[22:23], v[26:27], s[14:15], v[6:7]
	v_fma_f64 v[6:7], v[26:27], s[14:15], -v[6:7]
	v_fma_f64 v[30:31], v[26:27], s[16:17], v[20:21]
	v_fma_f64 v[20:21], v[26:27], s[16:17], -v[20:21]
	v_fma_f64 v[32:33], v[26:27], s[20:21], v[4:5]
	v_mul_f64 v[34:35], v[14:15], s[18:19]
	v_fma_f64 v[4:5], v[26:27], s[20:21], -v[4:5]
	v_fma_f64 v[26:27], v[24:25], s[6:7], v[28:29]
	v_fma_f64 v[28:29], v[24:25], s[6:7], -v[28:29]
	v_mul_f64 v[38:39], v[14:15], s[30:31]
	v_add_f64 v[2:3], v[0:1], v[2:3]
	v_add_f64 v[10:11], v[0:1], v[10:11]
	;; [unrolled: 1-line block ×7, first 2 shown]
	v_fma_f64 v[40:41], v[24:25], s[16:17], v[34:35]
	v_add_f64 v[0:1], v[0:1], v[4:5]
	v_add_f64 v[4:5], v[26:27], v[8:9]
	v_fma_f64 v[8:9], v[24:25], s[16:17], -v[34:35]
	v_mul_f64 v[26:27], v[14:15], s[28:29]
	v_add_f64 v[12:13], v[28:29], v[12:13]
	v_add_f64 v[28:29], v[90:91], -v[186:187]
	v_fma_f64 v[34:35], v[24:25], s[20:21], v[38:39]
	v_mul_f64 v[14:15], v[14:15], s[26:27]
	v_fma_f64 v[38:39], v[24:25], s[20:21], -v[38:39]
	v_add_f64 v[2:3], v[40:41], v[2:3]
	v_add_f64 v[8:9], v[8:9], v[10:11]
	v_fma_f64 v[10:11], v[24:25], s[14:15], v[26:27]
	v_add_f64 v[40:41], v[76:77], v[44:45]
	v_mul_f64 v[42:43], v[28:29], s[12:13]
	v_add_f64 v[22:23], v[34:35], v[22:23]
	v_fma_f64 v[26:27], v[24:25], s[14:15], -v[26:27]
	v_fma_f64 v[34:35], v[24:25], s[4:5], v[14:15]
	v_add_f64 v[6:7], v[38:39], v[6:7]
	v_mul_f64 v[38:39], v[28:29], s[30:31]
	v_fma_f64 v[14:15], v[24:25], s[4:5], -v[14:15]
	v_add_f64 v[10:11], v[10:11], v[30:31]
	v_fma_f64 v[24:25], v[40:41], s[14:15], v[42:43]
	v_fma_f64 v[30:31], v[40:41], s[14:15], -v[42:43]
	v_add_f64 v[20:21], v[26:27], v[20:21]
	v_add_f64 v[26:27], v[34:35], v[32:33]
	v_mul_f64 v[32:33], v[28:29], s[34:35]
	v_fma_f64 v[34:35], v[40:41], s[20:21], v[38:39]
	v_add_f64 v[0:1], v[14:15], v[0:1]
	v_add_f64 v[14:15], v[52:53], -v[184:185]
	v_fma_f64 v[38:39], v[40:41], s[20:21], -v[38:39]
	v_add_f64 v[4:5], v[24:25], v[4:5]
	v_add_f64 v[12:13], v[30:31], v[12:13]
	v_mul_f64 v[24:25], v[28:29], s[10:11]
	v_fma_f64 v[30:31], v[40:41], s[6:7], v[32:33]
	v_add_f64 v[2:3], v[34:35], v[2:3]
	v_fma_f64 v[32:33], v[40:41], s[6:7], -v[32:33]
	v_add_f64 v[34:35], v[36:37], v[54:55]
	v_mul_f64 v[36:37], v[14:15], s[18:19]
	v_add_f64 v[8:9], v[38:39], v[8:9]
	v_mul_f64 v[28:29], v[28:29], s[18:19]
	v_fma_f64 v[38:39], v[40:41], s[4:5], v[24:25]
	v_add_f64 v[22:23], v[30:31], v[22:23]
	v_fma_f64 v[24:25], v[40:41], s[4:5], -v[24:25]
	v_mul_f64 v[30:31], v[14:15], s[28:29]
	v_add_f64 v[6:7], v[32:33], v[6:7]
	v_fma_f64 v[32:33], v[34:35], s[16:17], v[36:37]
	v_fma_f64 v[36:37], v[34:35], s[16:17], -v[36:37]
	v_fma_f64 v[42:43], v[40:41], s[16:17], v[28:29]
	v_fma_f64 v[28:29], v[40:41], s[16:17], -v[28:29]
	v_add_f64 v[10:11], v[38:39], v[10:11]
	v_add_f64 v[20:21], v[24:25], v[20:21]
	v_fma_f64 v[24:25], v[34:35], s[14:15], v[30:31]
	v_mul_f64 v[38:39], v[14:15], s[10:11]
	v_add_f64 v[4:5], v[32:33], v[4:5]
	v_add_f64 v[32:33], v[72:73], -v[128:129]
	v_add_f64 v[26:27], v[42:43], v[26:27]
	v_add_f64 v[0:1], v[28:29], v[0:1]
	v_mul_f64 v[28:29], v[14:15], s[22:23]
	v_mul_f64 v[14:15], v[14:15], s[34:35]
	v_add_f64 v[2:3], v[24:25], v[2:3]
	v_fma_f64 v[24:25], v[34:35], s[14:15], -v[30:31]
	v_fma_f64 v[30:31], v[34:35], s[4:5], v[38:39]
	v_add_f64 v[40:41], v[58:59], v[48:49]
	v_mul_f64 v[42:43], v[32:33], s[22:23]
	v_add_f64 v[12:13], v[36:37], v[12:13]
	v_fma_f64 v[36:37], v[34:35], s[4:5], -v[38:39]
	v_fma_f64 v[38:39], v[34:35], s[20:21], v[28:29]
	v_fma_f64 v[28:29], v[34:35], s[20:21], -v[28:29]
	v_add_f64 v[8:9], v[24:25], v[8:9]
	v_add_f64 v[22:23], v[30:31], v[22:23]
	v_fma_f64 v[24:25], v[34:35], s[6:7], v[14:15]
	v_fma_f64 v[14:15], v[34:35], s[6:7], -v[14:15]
	v_fma_f64 v[30:31], v[40:41], s[20:21], v[42:43]
	v_mul_f64 v[34:35], v[32:33], s[26:27]
	v_add_f64 v[10:11], v[38:39], v[10:11]
	v_add_f64 v[20:21], v[28:29], v[20:21]
	v_fma_f64 v[28:29], v[40:41], s[20:21], -v[42:43]
	v_add_f64 v[6:7], v[36:37], v[6:7]
	v_add_f64 v[24:25], v[24:25], v[26:27]
	v_mul_f64 v[26:27], v[32:33], s[18:19]
	v_add_f64 v[0:1], v[14:15], v[0:1]
	v_mul_f64 v[14:15], v[32:33], s[34:35]
	;; [unrolled: 2-line block ×3, first 2 shown]
	v_add_f64 v[90:91], v[28:29], v[12:13]
	v_fma_f64 v[12:13], v[40:41], s[4:5], v[34:35]
	v_fma_f64 v[28:29], v[40:41], s[4:5], -v[34:35]
	v_fma_f64 v[30:31], v[40:41], s[16:17], v[26:27]
	v_fma_f64 v[26:27], v[40:41], s[16:17], -v[26:27]
	;; [unrolled: 2-line block ×4, first 2 shown]
	v_add_u32_e32 v129, 0x1800, v223
	v_add_u32_e32 v131, 0x2000, v223
	;; [unrolled: 1-line block ×3, first 2 shown]
	v_add_f64 v[92:93], v[12:13], v[2:3]
	v_add_f64 v[120:121], v[28:29], v[8:9]
	;; [unrolled: 1-line block ×7, first 2 shown]
	ds_read2_b64 v[12:15], v223 offset1:55
	ds_read2_b64 v[0:3], v130 offset0:74 offset1:129
	ds_read2_b64 v[68:71], v129 offset0:2 offset1:57
	;; [unrolled: 1-line block ×9, first 2 shown]
	v_add_u32_e32 v24, 0x1c00, v223
	v_add_u32_e32 v132, 0x2800, v223
	v_add_u32_e32 v4, 0x400, v223
	ds_read2_b64 v[36:39], v24 offset0:94 offset1:149
	v_add_u32_e32 v24, 0x3400, v223
	v_add_f64 v[164:165], v[26:27], v[6:7]
	ds_read2_b64 v[44:47], v122 offset0:38 offset1:93
	ds_read2_b64 v[40:43], v132 offset0:40 offset1:95
	;; [unrolled: 1-line block ×6, first 2 shown]
	ds_read_b64 v[80:81], v223 offset:14960
	s_waitcnt lgkmcnt(0)
	; wave barrier
	s_waitcnt lgkmcnt(0)
	ds_write2_b64 v226, v[118:119], v[114:115] offset1:7
	ds_write2_b64 v226, v[138:139], v[142:143] offset0:14 offset1:21
	ds_write2_b64 v226, v[154:155], v[158:159] offset0:28 offset1:35
	ds_write2_b64 v226, v[162:163], v[156:157] offset0:42 offset1:49
	ds_write2_b64 v226, v[150:151], v[124:125] offset0:56 offset1:63
	ds_write_b64 v226, v[78:79] offset:560
	ds_write2_b64 v227, v[160:161], v[64:65] offset1:7
	ds_write2_b64 v227, v[98:99], v[104:105] offset0:14 offset1:21
	ds_write2_b64 v227, v[136:137], v[144:145] offset0:28 offset1:35
	ds_write2_b64 v227, v[146:147], v[140:141] offset0:42 offset1:49
	ds_write2_b64 v227, v[108:109], v[102:103] offset0:56 offset1:63
	ds_write_b64 v227, v[88:89] offset:560
	;; [unrolled: 6-line block ×3, first 2 shown]
	s_and_saveexec_b64 s[4:5], s[0:1]
	s_cbranch_execz .LBB0_19
; %bb.18:
	buffer_load_dword v126, off, s[40:43], 0 offset:8 ; 4-byte Folded Reload
	buffer_load_dword v127, off, s[40:43], 0 offset:12 ; 4-byte Folded Reload
	v_add_f64 v[64:65], v[116:117], v[180:181]
	v_add_f64 v[78:79], v[178:179], -v[198:199]
	s_mov_b32 s18, 0xf8bb580b
	s_mov_b32 s14, 0x43842ef
	;; [unrolled: 1-line block ×6, first 2 shown]
	v_add_f64 v[64:65], v[64:65], v[110:111]
	s_mov_b32 s10, 0x8eee2c13
	s_mov_b32 s15, 0xbfefac9e
	;; [unrolled: 1-line block ×4, first 2 shown]
	v_add_f64 v[76:77], v[180:181], v[18:19]
	v_add_f64 v[90:91], v[106:107], -v[196:197]
	v_mul_f64 v[92:93], v[78:79], s[18:19]
	v_add_f64 v[64:65], v[64:65], v[84:85]
	v_mul_f64 v[98:99], v[78:79], s[10:11]
	v_mul_f64 v[102:103], v[78:79], s[14:15]
	;; [unrolled: 1-line block ×4, first 2 shown]
	s_mov_b32 s0, 0x8764f0ba
	s_mov_b32 s12, 0x640f44db
	;; [unrolled: 1-line block ×8, first 2 shown]
	v_add_f64 v[88:89], v[110:111], v[194:195]
	v_mul_f64 v[108:109], v[90:91], s[20:21]
	v_mul_f64 v[110:111], v[90:91], s[30:31]
	;; [unrolled: 1-line block ×3, first 2 shown]
	v_fma_f64 v[118:119], v[76:77], s[0:1], v[92:93]
	v_fma_f64 v[92:93], v[76:77], s[0:1], -v[92:93]
	v_fma_f64 v[120:121], v[76:77], s[6:7], v[98:99]
	v_fma_f64 v[98:99], v[76:77], s[6:7], -v[98:99]
	;; [unrolled: 2-line block ×5, first 2 shown]
	s_mov_b32 s26, s18
	v_mul_f64 v[106:107], v[90:91], s[10:11]
	v_fma_f64 v[140:141], v[88:89], s[16:17], v[108:109]
	v_add_f64 v[118:119], v[116:117], v[118:119]
	v_add_f64 v[92:93], v[116:117], v[92:93]
	;; [unrolled: 1-line block ×10, first 2 shown]
	v_add_f64 v[94:95], v[94:95], -v[182:183]
	v_mul_f64 v[90:91], v[90:91], s[26:27]
	v_fma_f64 v[116:117], v[88:89], s[12:13], v[114:115]
	v_fma_f64 v[78:79], v[88:89], s[6:7], v[106:107]
	v_fma_f64 v[106:107], v[88:89], s[6:7], -v[106:107]
	s_mov_b32 s11, 0x3fed1bb4
	v_add_f64 v[82:83], v[82:83], -v[219:220]
	v_add_f64 v[78:79], v[78:79], v[118:119]
	v_add_f64 v[92:93], v[106:107], v[92:93]
	;; [unrolled: 1-line block ×3, first 2 shown]
	s_waitcnt vmcnt(0)
	v_add_f64 v[64:65], v[64:65], v[126:127]
	v_add_f64 v[64:65], v[64:65], v[66:67]
	;; [unrolled: 1-line block ×8, first 2 shown]
	v_mul_f64 v[84:85], v[94:95], s[14:15]
	v_add_f64 v[64:65], v[64:65], v[194:195]
	v_add_f64 v[18:19], v[64:65], v[18:19]
	v_fma_f64 v[64:65], v[88:89], s[16:17], -v[108:109]
	v_fma_f64 v[108:109], v[88:89], s[22:23], v[110:111]
	v_fma_f64 v[110:111], v[88:89], s[22:23], -v[110:111]
	v_add_f64 v[64:65], v[64:65], v[98:99]
	v_fma_f64 v[98:99], v[88:89], s[12:13], -v[114:115]
	v_fma_f64 v[114:115], v[88:89], s[0:1], v[90:91]
	v_add_f64 v[102:103], v[110:111], v[102:103]
	v_add_f64 v[110:111], v[116:117], v[136:137]
	v_mul_f64 v[116:117], v[94:95], s[30:31]
	v_fma_f64 v[88:89], v[88:89], s[0:1], -v[90:91]
	v_fma_f64 v[90:91], v[16:17], s[12:13], v[84:85]
	v_fma_f64 v[84:85], v[16:17], s[12:13], -v[84:85]
	v_add_f64 v[98:99], v[98:99], v[104:105]
	v_add_f64 v[104:105], v[114:115], v[138:139]
	v_mul_f64 v[114:115], v[94:95], s[10:11]
	v_add_f64 v[108:109], v[108:109], v[124:125]
	v_fma_f64 v[118:119], v[16:17], s[22:23], v[116:117]
	v_fma_f64 v[116:117], v[16:17], s[22:23], -v[116:117]
	v_add_f64 v[76:77], v[88:89], v[76:77]
	v_add_f64 v[78:79], v[90:91], v[78:79]
	;; [unrolled: 1-line block ×3, first 2 shown]
	v_mul_f64 v[88:89], v[94:95], s[18:19]
	v_fma_f64 v[90:91], v[16:17], s[6:7], v[114:115]
	v_mul_f64 v[94:95], v[94:95], s[20:21]
	v_add_f64 v[92:93], v[118:119], v[106:107]
	v_fma_f64 v[106:107], v[16:17], s[6:7], -v[114:115]
	v_mul_f64 v[114:115], v[82:83], s[20:21]
	v_add_f64 v[64:65], v[116:117], v[64:65]
	v_fma_f64 v[116:117], v[16:17], s[0:1], v[88:89]
	v_add_f64 v[90:91], v[90:91], v[108:109]
	v_fma_f64 v[88:89], v[16:17], s[0:1], -v[88:89]
	v_mul_f64 v[108:109], v[82:83], s[28:29]
	v_fma_f64 v[118:119], v[16:17], s[16:17], v[94:95]
	v_fma_f64 v[16:17], v[16:17], s[16:17], -v[94:95]
	v_fma_f64 v[94:95], v[112:113], s[16:17], v[114:115]
	v_add_f64 v[102:103], v[106:107], v[102:103]
	v_add_f64 v[106:107], v[116:117], v[110:111]
	v_fma_f64 v[110:111], v[112:113], s[16:17], -v[114:115]
	v_add_f64 v[88:89], v[88:89], v[98:99]
	v_fma_f64 v[98:99], v[112:113], s[12:13], v[108:109]
	v_mul_f64 v[114:115], v[82:83], s[18:19]
	v_add_f64 v[16:17], v[16:17], v[76:77]
	v_add_f64 v[76:77], v[94:95], v[78:79]
	v_mul_f64 v[78:79], v[82:83], s[24:25]
	v_add_f64 v[94:95], v[96:97], -v[100:101]
	v_fma_f64 v[96:97], v[112:113], s[12:13], -v[108:109]
	v_mul_f64 v[82:83], v[82:83], s[10:11]
	v_add_f64 v[104:105], v[118:119], v[104:105]
	v_add_f64 v[92:93], v[98:99], v[92:93]
	v_fma_f64 v[98:99], v[112:113], s[0:1], v[114:115]
	v_fma_f64 v[100:101], v[112:113], s[0:1], -v[114:115]
	v_fma_f64 v[108:109], v[112:113], s[22:23], v[78:79]
	v_mul_f64 v[86:87], v[94:95], s[24:25]
	v_fma_f64 v[78:79], v[112:113], s[22:23], -v[78:79]
	v_add_f64 v[64:65], v[96:97], v[64:65]
	v_fma_f64 v[96:97], v[112:113], s[6:7], v[82:83]
	v_fma_f64 v[82:83], v[112:113], s[6:7], -v[82:83]
	v_add_f64 v[84:85], v[110:111], v[84:85]
	v_add_f64 v[90:91], v[98:99], v[90:91]
	;; [unrolled: 1-line block ×3, first 2 shown]
	v_fma_f64 v[102:103], v[66:67], s[22:23], v[86:87]
	v_add_f64 v[78:79], v[78:79], v[88:89]
	v_fma_f64 v[86:87], v[66:67], s[22:23], -v[86:87]
	v_mul_f64 v[88:89], v[94:95], s[26:27]
	v_add_f64 v[96:97], v[96:97], v[104:105]
	v_mul_f64 v[104:105], v[94:95], s[20:21]
	v_add_f64 v[16:17], v[82:83], v[16:17]
	v_mul_f64 v[82:83], v[94:95], s[10:11]
	v_mul_f64 v[94:95], v[94:95], s[14:15]
	v_add_f64 v[76:77], v[102:103], v[76:77]
	v_add_f64 v[84:85], v[86:87], v[84:85]
	v_fma_f64 v[86:87], v[66:67], s[0:1], v[88:89]
	v_fma_f64 v[88:89], v[66:67], s[0:1], -v[88:89]
	v_fma_f64 v[102:103], v[66:67], s[16:17], v[104:105]
	v_add_f64 v[100:101], v[108:109], v[106:107]
	v_fma_f64 v[106:107], v[66:67], s[6:7], v[82:83]
	v_fma_f64 v[82:83], v[66:67], s[6:7], -v[82:83]
	v_fma_f64 v[108:109], v[66:67], s[12:13], v[94:95]
	v_fma_f64 v[104:105], v[66:67], s[16:17], -v[104:105]
	v_fma_f64 v[66:67], v[66:67], s[12:13], -v[94:95]
	v_add_f64 v[86:87], v[86:87], v[92:93]
	v_add_f64 v[64:65], v[88:89], v[64:65]
	;; [unrolled: 1-line block ×8, first 2 shown]
	v_mov_b32_e32 v67, 3
	v_mul_u32_u24_e32 v66, 0x268, v218
	v_lshlrev_b32_sdwa v67, v67, v228 dst_sel:DWORD dst_unused:UNUSED_PAD src0_sel:DWORD src1_sel:BYTE_0
	v_add3_u32 v66, 0, v66, v67
	ds_write2_b64 v66, v[18:19], v[76:77] offset1:7
	ds_write2_b64 v66, v[86:87], v[88:89] offset0:14 offset1:21
	ds_write2_b64 v66, v[92:93], v[82:83] offset0:28 offset1:35
	;; [unrolled: 1-line block ×4, first 2 shown]
	ds_write_b64 v66, v[84:85] offset:560
.LBB0_19:
	s_or_b64 exec, exec, s[4:5]
	v_lshlrev_b32_e32 v123, 2, v222
	v_mov_b32_e32 v124, 0
	v_lshlrev_b64 v[16:17], 4, v[123:124]
	v_mov_b32_e32 v18, s9
	v_add_co_u32_e64 v120, s[0:1], s8, v16
	v_addc_co_u32_e64 v121, s[0:1], v18, v17, s[0:1]
	v_subrev_u32_e32 v16, 22, v222
	v_cmp_gt_u32_e64 s[0:1], 22, v222
	v_cndmask_b32_e64 v16, v16, v221, s[0:1]
	v_lshlrev_b32_e32 v123, 2, v16
	s_waitcnt lgkmcnt(0)
	; wave barrier
	s_waitcnt lgkmcnt(0)
	global_load_dwordx4 v[82:85], v[120:121], off offset:1168
	global_load_dwordx4 v[86:89], v[120:121], off offset:1136
	;; [unrolled: 1-line block ×3, first 2 shown]
	v_add_u32_e32 v19, 0x6e, v222
	buffer_store_dword v16, off, s[40:43], 0 offset:8 ; 4-byte Folded Spill
	v_lshlrev_b64 v[16:17], 4, v[123:124]
	v_add_u32_e32 v115, 0x113, v222
	v_add_co_u32_e64 v16, s[0:1], s8, v16
	v_addc_co_u32_e64 v17, s[0:1], v18, v17, s[0:1]
	global_load_dwordx4 v[94:97], v[16:17], off offset:1136
	global_load_dwordx4 v[98:101], v[16:17], off offset:1168
	;; [unrolled: 1-line block ×3, first 2 shown]
	s_movk_i32 s0, 0xd5
	v_mul_lo_u16_sdwa v18, v19, s0 dst_sel:DWORD dst_unused:UNUSED_PAD src0_sel:BYTE_0 src1_sel:DWORD
	v_lshrrev_b16_e32 v18, 14, v18
	buffer_store_dword v18, off, s[40:43], 0 offset:16 ; 4-byte Folded Spill
	v_mul_lo_u16_e32 v18, 0x4d, v18
	v_sub_u16_e32 v117, v19, v18
	v_mov_b32_e32 v18, 6
	v_lshlrev_b32_sdwa v64, v18, v117 dst_sel:DWORD dst_unused:UNUSED_PAD src0_sel:DWORD src1_sel:BYTE_0
	global_load_dwordx4 v[106:109], v64, s[8:9] offset:1120
	global_load_dwordx4 v[110:113], v[120:121], off offset:1152
	global_load_dwordx4 v[138:141], v[16:17], off offset:1152
	ds_read2_b64 v[76:79], v223 offset1:55
	ds_read2_b64 v[16:19], v130 offset0:74 offset1:129
	ds_read2_b64 v[142:145], v129 offset0:2 offset1:57
	;; [unrolled: 1-line block ×5, first 2 shown]
	global_load_dwordx4 v[158:161], v64, s[8:9] offset:1136
	ds_read2_b64 v[162:165], v131 offset0:186 offset1:241
	global_load_dwordx4 v[166:169], v64, s[8:9] offset:1168
	global_load_dwordx4 v[170:173], v64, s[8:9] offset:1152
	v_mul_lo_u16_sdwa v114, v229, s0 dst_sel:DWORD dst_unused:UNUSED_PAD src0_sel:BYTE_0 src1_sel:DWORD
	v_lshrrev_b16_e32 v114, 14, v114
	v_mul_lo_u16_e32 v114, 0x4d, v114
	v_sub_u16_e32 v114, v229, v114
	v_and_b32_e32 v116, 0xff, v114
	v_lshlrev_b32_e32 v123, 6, v116
	ds_read2_b64 v[64:67], v223 offset0:110 offset1:165
	ds_read2_b64 v[174:177], v129 offset0:112 offset1:167
	;; [unrolled: 1-line block ×4, first 2 shown]
	global_load_dwordx4 v[186:189], v123, s[8:9] offset:1136
	global_load_dwordx4 v[194:197], v123, s[8:9] offset:1120
	s_movk_i32 s0, 0x1a99
	v_mul_u32_u24_sdwa v119, v115, s0 dst_sel:DWORD dst_unused:UNUSED_PAD src0_sel:WORD_0 src1_sel:DWORD
	v_lshrrev_b32_e32 v118, 19, v119
	buffer_store_dword v118, off, s[40:43], 0 offset:20 ; 4-byte Folded Spill
	ds_read2_b64 v[190:193], v132 offset0:40 offset1:95
	global_load_dwordx4 v[198:201], v123, s[8:9] offset:1168
	global_load_dwordx4 v[202:205], v123, s[8:9] offset:1152
	v_add_u32_e32 v128, 0xdc, v222
	v_mul_u32_u24_sdwa v114, v128, s0 dst_sel:DWORD dst_unused:UNUSED_PAD src0_sel:WORD_0 src1_sel:DWORD
	v_lshrrev_b32_e32 v114, 19, v114
	v_mul_lo_u16_e32 v125, 0x4d, v114
	v_mul_lo_u16_e32 v126, 0x4d, v118
	v_sub_u16_e32 v136, v128, v125
	v_sub_u16_e32 v115, v115, v126
	buffer_store_dword v115, off, s[40:43], 0 offset:24 ; 4-byte Folded Spill
	v_lshlrev_b32_e32 v125, 6, v136
	global_load_dwordx4 v[206:209], v125, s[8:9] offset:1168
	global_load_dwordx4 v[210:213], v125, s[8:9] offset:1152
	;; [unrolled: 1-line block ×4, first 2 shown]
	v_add_u32_e32 v127, 0x14a, v222
	v_mov_b32_e32 v123, v129
	v_mov_b32_e32 v119, v130
	v_add_u32_e32 v118, 0x400, v223
	s_mov_b32 s4, 0x134454ff
	s_mov_b32 s5, 0x3fee6f0e
	;; [unrolled: 1-line block ×10, first 2 shown]
	v_lshl_add_u32 v116, v116, 3, 0
	s_waitcnt vmcnt(23) lgkmcnt(7)
	v_mul_f64 v[232:233], v[150:151], v[84:85]
	v_mul_f64 v[84:85], v[72:73], v[84:85]
	s_waitcnt vmcnt(22)
	v_mul_f64 v[230:231], v[142:143], v[88:89]
	v_mul_f64 v[88:89], v[68:69], v[88:89]
	s_waitcnt vmcnt(21)
	v_mul_f64 v[224:225], v[18:19], v[92:93]
	v_mul_f64 v[92:93], v[2:3], v[92:93]
	v_fma_f64 v[72:73], v[72:73], v[82:83], -v[232:233]
	s_waitcnt vmcnt(19)
	v_mul_f64 v[238:239], v[144:145], v[96:97]
	v_mul_f64 v[96:97], v[70:71], v[96:97]
	v_fma_f64 v[248:249], v[150:151], v[82:83], v[84:85]
	v_lshlrev_b32_e32 v82, 6, v115
	s_waitcnt vmcnt(18)
	v_mul_f64 v[240:241], v[152:153], v[100:101]
	v_mul_f64 v[100:101], v[74:75], v[100:101]
	v_fma_f64 v[244:245], v[68:69], v[86:87], -v[230:231]
	global_load_dwordx4 v[230:233], v82, s[8:9] offset:1136
	global_load_dwordx4 v[234:237], v82, s[8:9] offset:1120
	v_fma_f64 v[246:247], v[142:143], v[86:87], v[88:89]
	v_fma_f64 v[250:251], v[70:71], v[94:95], -v[238:239]
	v_fma_f64 v[252:253], v[144:145], v[94:95], v[96:97]
	global_load_dwordx4 v[68:71], v82, s[8:9] offset:1168
	global_load_dwordx4 v[142:145], v82, s[8:9] offset:1152
	v_mul_u32_u24_sdwa v82, v127, s0 dst_sel:DWORD dst_unused:UNUSED_PAD src0_sel:WORD_0 src1_sel:DWORD
	v_lshrrev_b32_e32 v82, 19, v82
	v_mul_lo_u16_e32 v82, 0x4d, v82
	v_sub_u16_e32 v137, v127, v82
	v_lshlrev_b32_e32 v88, 6, v137
	v_fma_f64 v[224:225], v[2:3], v[90:91], -v[224:225]
	v_fma_f64 v[242:243], v[18:19], v[90:91], v[92:93]
	s_waitcnt vmcnt(21) lgkmcnt(6)
	v_mul_f64 v[2:3], v[154:155], v[104:105]
	v_mul_f64 v[18:19], v[60:61], v[104:105]
	v_fma_f64 v[254:255], v[74:75], v[98:99], -v[240:241]
	v_fma_f64 v[218:219], v[152:153], v[98:99], v[100:101]
	global_load_dwordx4 v[96:99], v88, s[8:9] offset:1136
	global_load_dwordx4 v[150:153], v88, s[8:9] offset:1120
	s_waitcnt vmcnt(21)
	v_mul_f64 v[74:75], v[156:157], v[108:109]
	s_waitcnt vmcnt(20)
	v_mul_f64 v[82:83], v[148:149], v[112:113]
	v_mul_f64 v[86:87], v[22:23], v[112:113]
	v_fma_f64 v[220:221], v[60:61], v[102:103], -v[2:3]
	v_fma_f64 v[125:126], v[154:155], v[102:103], v[18:19]
	global_load_dwordx4 v[100:103], v88, s[8:9] offset:1168
	global_load_dwordx4 v[238:241], v88, s[8:9] offset:1152
	s_waitcnt vmcnt(21) lgkmcnt(5)
	v_mul_f64 v[2:3], v[162:163], v[140:141]
	v_mul_f64 v[18:19], v[56:57], v[140:141]
	v_fma_f64 v[133:134], v[62:63], v[106:107], -v[74:75]
	v_fma_f64 v[129:130], v[22:23], v[110:111], -v[82:83]
	s_waitcnt vmcnt(20) lgkmcnt(3)
	v_mul_f64 v[22:23], v[174:175], v[160:161]
	v_mul_f64 v[74:75], v[52:53], v[160:161]
	s_waitcnt vmcnt(18)
	v_mul_f64 v[82:83], v[164:165], v[172:173]
	v_fma_f64 v[148:149], v[148:149], v[110:111], v[86:87]
	v_fma_f64 v[160:161], v[56:57], v[138:139], -v[2:3]
	v_mul_f64 v[2:3], v[58:59], v[172:173]
	v_fma_f64 v[162:163], v[162:163], v[138:139], v[18:19]
	s_waitcnt lgkmcnt(2)
	v_mul_f64 v[18:19], v[178:179], v[168:169]
	v_fma_f64 v[172:173], v[52:53], v[158:159], -v[22:23]
	v_mul_f64 v[22:23], v[48:49], v[168:169]
	v_mul_f64 v[84:85], v[62:63], v[108:109]
	s_waitcnt vmcnt(17)
	v_mul_f64 v[52:53], v[176:177], v[188:189]
	v_fma_f64 v[158:159], v[174:175], v[158:159], v[74:75]
	v_fma_f64 v[164:165], v[164:165], v[170:171], v[2:3]
	v_mul_f64 v[2:3], v[54:55], v[188:189]
	v_fma_f64 v[168:169], v[48:49], v[166:167], -v[18:19]
	s_waitcnt vmcnt(16) lgkmcnt(1)
	v_mul_f64 v[18:19], v[182:183], v[196:197]
	v_fma_f64 v[166:167], v[178:179], v[166:167], v[22:23]
	v_add_u32_e32 v188, 0x3400, v223
	v_fma_f64 v[127:128], v[156:157], v[106:107], v[84:85]
	ds_read2_b64 v[104:107], v188 offset0:96 offset1:151
	v_fma_f64 v[174:175], v[58:59], v[170:171], -v[82:83]
	v_fma_f64 v[110:111], v[176:177], v[186:187], v[2:3]
	s_waitcnt vmcnt(13) lgkmcnt(1)
	v_mul_f64 v[2:3], v[190:191], v[204:205]
	v_fma_f64 v[176:177], v[44:45], v[194:195], -v[18:19]
	v_mul_f64 v[18:19], v[180:181], v[200:201]
	v_mul_f64 v[22:23], v[44:45], v[196:197]
	v_fma_f64 v[170:171], v[54:55], v[186:187], -v[52:53]
	v_mul_f64 v[48:49], v[40:41], v[204:205]
	v_mul_f64 v[44:45], v[50:51], v[200:201]
	v_add_u32_e32 v115, 0x1c00, v223
	v_fma_f64 v[178:179], v[40:41], v[202:203], -v[2:3]
	s_waitcnt vmcnt(8)
	v_mul_f64 v[2:3], v[184:185], v[228:229]
	v_fma_f64 v[186:187], v[50:51], v[198:199], -v[18:19]
	v_mul_f64 v[18:19], v[46:47], v[228:229]
	ds_read2_b64 v[56:59], v115 offset0:94 offset1:149
	ds_read2_b64 v[138:141], v122 offset0:148 offset1:203
	v_fma_f64 v[112:113], v[182:183], v[194:195], v[22:23]
	v_fma_f64 v[182:183], v[190:191], v[202:203], v[48:49]
	;; [unrolled: 1-line block ×3, first 2 shown]
	v_fma_f64 v[94:95], v[46:47], v[226:227], -v[2:3]
	s_waitcnt lgkmcnt(2)
	v_mul_f64 v[2:3], v[104:105], v[208:209]
	s_waitcnt lgkmcnt(1)
	v_mul_f64 v[22:23], v[56:57], v[216:217]
	v_mul_f64 v[44:45], v[192:193], v[212:213]
	;; [unrolled: 1-line block ×4, first 2 shown]
	v_fma_f64 v[74:75], v[184:185], v[226:227], v[18:19]
	ds_read2_b64 v[60:63], v118 offset0:92 offset1:147
	ds_read2_b64 v[154:157], v132 offset0:150 offset1:205
	ds_read_b64 v[52:53], v223 offset:14960
	v_fma_f64 v[92:93], v[32:33], v[206:207], -v[2:3]
	v_mul_f64 v[40:41], v[36:37], v[216:217]
	v_fma_f64 v[88:89], v[36:37], v[214:215], -v[22:23]
	v_fma_f64 v[90:91], v[42:43], v[210:211], -v[44:45]
	s_waitcnt vmcnt(6) lgkmcnt(3)
	v_mul_f64 v[18:19], v[138:139], v[236:237]
	v_mul_f64 v[2:3], v[28:29], v[236:237]
	v_fma_f64 v[84:85], v[192:193], v[210:211], v[48:49]
	v_fma_f64 v[86:87], v[104:105], v[206:207], v[46:47]
	v_mul_f64 v[22:23], v[58:59], v[232:233]
	s_waitcnt vmcnt(4) lgkmcnt(1)
	v_mul_f64 v[42:43], v[154:155], v[144:145]
	v_mul_f64 v[44:45], v[24:25], v[144:145]
	v_add_f64 v[48:49], v[244:245], v[129:130]
	v_fma_f64 v[46:47], v[28:29], v[234:235], -v[18:19]
	v_mul_f64 v[18:19], v[106:107], v[70:71]
	v_mul_f64 v[28:29], v[34:35], v[70:71]
	v_fma_f64 v[32:33], v[138:139], v[234:235], v[2:3]
	v_fma_f64 v[82:83], v[56:57], v[214:215], v[40:41]
	v_mul_f64 v[36:37], v[38:39], v[232:233]
	v_fma_f64 v[40:41], v[38:39], v[230:231], -v[22:23]
	v_fma_f64 v[42:43], v[24:25], v[142:143], -v[42:43]
	s_waitcnt vmcnt(2)
	v_mul_f64 v[2:3], v[140:141], v[152:153]
	v_fma_f64 v[38:39], v[154:155], v[142:143], v[44:45]
	v_fma_f64 v[54:55], v[34:35], v[68:69], -v[18:19]
	v_fma_f64 v[34:35], v[106:107], v[68:69], v[28:29]
	v_mul_f64 v[18:19], v[30:31], v[152:153]
	v_mul_f64 v[24:25], v[146:147], v[98:99]
	v_add_f64 v[28:29], v[12:13], v[224:225]
	v_mul_f64 v[44:45], v[20:21], v[98:99]
	v_fma_f64 v[22:23], v[30:31], v[150:151], -v[2:3]
	s_waitcnt vmcnt(0)
	v_mul_f64 v[30:31], v[156:157], v[240:241]
	v_mul_f64 v[50:51], v[26:27], v[240:241]
	v_fma_f64 v[48:49], v[48:49], -0.5, v[12:13]
	v_add_f64 v[56:57], v[242:243], -v[248:249]
	v_fma_f64 v[36:37], v[58:59], v[230:231], v[36:37]
	v_fma_f64 v[2:3], v[140:141], v[150:151], v[18:19]
	v_fma_f64 v[24:25], v[20:21], v[96:97], -v[24:25]
	v_add_f64 v[28:29], v[28:29], v[244:245]
	v_fma_f64 v[20:21], v[146:147], v[96:97], v[44:45]
	v_fma_f64 v[26:27], v[26:27], v[238:239], -v[30:31]
	v_fma_f64 v[18:19], v[156:157], v[238:239], v[50:51]
	s_waitcnt lgkmcnt(0)
	v_mul_f64 v[30:31], v[52:53], v[102:103]
	v_mul_f64 v[50:51], v[80:81], v[102:103]
	v_fma_f64 v[58:59], v[56:57], s[4:5], v[48:49]
	v_add_f64 v[68:69], v[246:247], -v[148:149]
	v_add_f64 v[70:71], v[224:225], v[72:73]
	v_add_f64 v[96:97], v[224:225], -v[244:245]
	v_add_f64 v[98:99], v[72:73], -v[129:130]
	v_add_f64 v[28:29], v[28:29], v[129:130]
	v_fma_f64 v[44:45], v[80:81], v[100:101], -v[30:31]
	v_fma_f64 v[30:31], v[52:53], v[100:101], v[50:51]
	v_fma_f64 v[48:49], v[56:57], s[10:11], v[48:49]
	;; [unrolled: 1-line block ×3, first 2 shown]
	v_fma_f64 v[12:13], v[70:71], -0.5, v[12:13]
	v_add_f64 v[58:59], v[246:247], v[148:149]
	v_add_f64 v[52:53], v[96:97], v[98:99]
	v_add_f64 v[80:81], v[244:245], -v[224:225]
	v_add_f64 v[96:97], v[129:130], -v[72:73]
	v_add_f64 v[98:99], v[76:77], v[242:243]
	v_add_f64 v[28:29], v[28:29], v[72:73]
	v_add_f64 v[72:73], v[224:225], -v[72:73]
	v_fma_f64 v[70:71], v[68:69], s[10:11], v[12:13]
	v_fma_f64 v[12:13], v[68:69], s[4:5], v[12:13]
	v_fma_f64 v[58:59], v[58:59], -0.5, v[76:77]
	v_fma_f64 v[68:69], v[68:69], s[12:13], v[48:49]
	v_add_f64 v[80:81], v[80:81], v[96:97]
	v_add_f64 v[96:97], v[98:99], v[246:247]
	;; [unrolled: 1-line block ×3, first 2 shown]
	v_add_f64 v[102:103], v[244:245], -v[129:130]
	v_fma_f64 v[70:71], v[56:57], s[6:7], v[70:71]
	v_fma_f64 v[56:57], v[56:57], s[12:13], v[12:13]
	;; [unrolled: 1-line block ×5, first 2 shown]
	v_add_f64 v[104:105], v[148:149], -v[248:249]
	v_fma_f64 v[68:69], v[98:99], -0.5, v[76:77]
	v_add_f64 v[76:77], v[242:243], -v[246:247]
	v_fma_f64 v[50:51], v[80:81], s[14:15], v[70:71]
	v_fma_f64 v[52:53], v[80:81], s[14:15], v[56:57]
	v_add_f64 v[56:57], v[96:97], v[148:149]
	v_fma_f64 v[70:71], v[102:103], s[12:13], v[100:101]
	v_add_f64 v[80:81], v[250:251], v[160:161]
	v_add_f64 v[96:97], v[248:249], -v[148:149]
	v_fma_f64 v[98:99], v[102:103], s[4:5], v[68:69]
	v_add_f64 v[100:101], v[246:247], -v[242:243]
	v_fma_f64 v[58:59], v[72:73], s[4:5], v[58:59]
	v_fma_f64 v[68:69], v[102:103], s[10:11], v[68:69]
	v_add_f64 v[106:107], v[14:15], v[220:221]
	v_add_f64 v[129:130], v[125:126], -v[218:219]
	v_fma_f64 v[80:81], v[80:81], -0.5, v[14:15]
	v_add_f64 v[76:77], v[76:77], v[96:97]
	v_fma_f64 v[96:97], v[72:73], s[12:13], v[98:99]
	v_add_f64 v[98:99], v[100:101], v[104:105]
	v_add_f64 v[100:101], v[220:221], v[254:255]
	v_fma_f64 v[58:59], v[102:103], s[6:7], v[58:59]
	v_fma_f64 v[72:73], v[72:73], s[6:7], v[68:69]
	v_add_f64 v[102:103], v[106:107], v[250:251]
	v_fma_f64 v[104:105], v[129:130], s[4:5], v[80:81]
	v_add_f64 v[106:107], v[252:253], -v[162:163]
	v_fma_f64 v[68:69], v[76:77], s[14:15], v[70:71]
	v_fma_f64 v[70:71], v[98:99], s[14:15], v[96:97]
	v_fma_f64 v[14:15], v[100:101], -0.5, v[14:15]
	v_fma_f64 v[58:59], v[76:77], s[14:15], v[58:59]
	v_fma_f64 v[72:73], v[98:99], s[14:15], v[72:73]
	v_add_f64 v[76:77], v[102:103], v[160:161]
	v_add_f64 v[98:99], v[220:221], -v[250:251]
	v_fma_f64 v[96:97], v[106:107], s[6:7], v[104:105]
	v_add_f64 v[100:101], v[252:253], v[162:163]
	v_add_f64 v[102:103], v[254:255], -v[160:161]
	v_fma_f64 v[80:81], v[129:130], s[10:11], v[80:81]
	v_fma_f64 v[104:105], v[106:107], s[10:11], v[14:15]
	;; [unrolled: 1-line block ×3, first 2 shown]
	v_add_f64 v[138:139], v[250:251], -v[220:221]
	v_add_f64 v[140:141], v[160:161], -v[254:255]
	v_add_f64 v[142:143], v[78:79], v[125:126]
	v_fma_f64 v[100:101], v[100:101], -0.5, v[78:79]
	v_add_f64 v[144:145], v[220:221], -v[254:255]
	v_add_f64 v[98:99], v[98:99], v[102:103]
	v_fma_f64 v[80:81], v[106:107], s[12:13], v[80:81]
	v_fma_f64 v[102:103], v[129:130], s[6:7], v[104:105]
	;; [unrolled: 1-line block ×3, first 2 shown]
	v_add_f64 v[129:130], v[125:126], v[218:219]
	v_add_f64 v[104:105], v[138:139], v[140:141]
	;; [unrolled: 1-line block ×3, first 2 shown]
	v_fma_f64 v[140:141], v[144:145], s[10:11], v[100:101]
	v_add_f64 v[142:143], v[250:251], -v[160:161]
	v_add_f64 v[14:15], v[76:77], v[254:255]
	v_fma_f64 v[100:101], v[144:145], s[4:5], v[100:101]
	v_fma_f64 v[96:97], v[98:99], s[14:15], v[96:97]
	v_fma_f64 v[76:77], v[129:130], -0.5, v[78:79]
	v_add_f64 v[129:130], v[172:173], v[174:175]
	v_fma_f64 v[80:81], v[98:99], s[14:15], v[80:81]
	v_fma_f64 v[98:99], v[104:105], s[14:15], v[102:103]
	;; [unrolled: 1-line block ×3, first 2 shown]
	v_add_f64 v[102:103], v[138:139], v[162:163]
	v_fma_f64 v[104:105], v[142:143], s[12:13], v[140:141]
	v_add_f64 v[106:107], v[125:126], -v[252:253]
	v_add_f64 v[138:139], v[218:219], -v[162:163]
	v_fma_f64 v[140:141], v[142:143], s[4:5], v[76:77]
	v_add_f64 v[125:126], v[252:253], -v[125:126]
	v_add_f64 v[146:147], v[162:163], -v[218:219]
	v_fma_f64 v[76:77], v[142:143], s[10:11], v[76:77]
	v_add_f64 v[148:149], v[8:9], v[133:134]
	v_fma_f64 v[129:130], v[129:130], -0.5, v[8:9]
	v_add_f64 v[150:151], v[127:128], -v[166:167]
	v_fma_f64 v[100:101], v[142:143], s[6:7], v[100:101]
	v_add_f64 v[142:143], v[133:134], v[168:169]
	v_add_f64 v[106:107], v[106:107], v[138:139]
	v_fma_f64 v[138:139], v[144:145], s[12:13], v[140:141]
	v_add_f64 v[125:126], v[125:126], v[146:147]
	v_fma_f64 v[140:141], v[144:145], s[6:7], v[76:77]
	;; [unrolled: 2-line block ×3, first 2 shown]
	v_add_f64 v[148:149], v[158:159], -v[164:165]
	v_fma_f64 v[8:9], v[142:143], -0.5, v[8:9]
	v_add_f64 v[142:143], v[158:159], v[164:165]
	v_fma_f64 v[129:130], v[150:151], s[10:11], v[129:130]
	v_add_f64 v[76:77], v[102:103], v[218:219]
	v_fma_f64 v[102:103], v[106:107], s[14:15], v[104:105]
	v_fma_f64 v[100:101], v[106:107], s[14:15], v[100:101]
	;; [unrolled: 1-line block ×4, first 2 shown]
	v_add_f64 v[125:126], v[144:145], v[174:175]
	v_fma_f64 v[138:139], v[148:149], s[6:7], v[146:147]
	v_add_f64 v[140:141], v[133:134], -v[172:173]
	v_add_f64 v[144:145], v[168:169], -v[174:175]
	v_fma_f64 v[146:147], v[148:149], s[10:11], v[8:9]
	v_add_f64 v[152:153], v[172:173], -v[133:134]
	v_add_f64 v[154:155], v[174:175], -v[168:169]
	v_fma_f64 v[8:9], v[148:149], s[4:5], v[8:9]
	v_add_f64 v[156:157], v[64:65], v[127:128]
	v_fma_f64 v[142:143], v[142:143], -0.5, v[64:65]
	v_add_f64 v[133:134], v[133:134], -v[168:169]
	v_fma_f64 v[129:130], v[148:149], s[12:13], v[129:130]
	v_add_f64 v[148:149], v[127:128], v[166:167]
	v_add_f64 v[140:141], v[140:141], v[144:145]
	v_fma_f64 v[144:145], v[150:151], s[6:7], v[146:147]
	v_add_f64 v[146:147], v[152:153], v[154:155]
	v_fma_f64 v[8:9], v[150:151], s[12:13], v[8:9]
	;; [unrolled: 2-line block ×3, first 2 shown]
	v_add_f64 v[154:155], v[172:173], -v[174:175]
	v_fma_f64 v[64:65], v[148:149], -0.5, v[64:65]
	v_fma_f64 v[138:139], v[140:141], s[14:15], v[138:139]
	v_fma_f64 v[129:130], v[140:141], s[14:15], v[129:130]
	;; [unrolled: 1-line block ×4, first 2 shown]
	v_add_f64 v[144:145], v[150:151], v[164:165]
	v_add_f64 v[148:149], v[127:128], -v[158:159]
	v_fma_f64 v[146:147], v[154:155], s[12:13], v[152:153]
	v_add_f64 v[150:151], v[170:171], v[178:179]
	v_add_f64 v[152:153], v[166:167], -v[164:165]
	v_fma_f64 v[156:157], v[154:155], s[4:5], v[64:65]
	v_fma_f64 v[64:65], v[154:155], s[10:11], v[64:65]
	;; [unrolled: 1-line block ×3, first 2 shown]
	v_add_f64 v[127:128], v[158:159], -v[127:128]
	v_add_f64 v[158:159], v[164:165], -v[166:167]
	v_add_f64 v[160:161], v[10:11], v[176:177]
	v_fma_f64 v[150:151], v[150:151], -0.5, v[10:11]
	v_add_f64 v[162:163], v[112:113], -v[108:109]
	v_add_f64 v[148:149], v[148:149], v[152:153]
	v_fma_f64 v[152:153], v[133:134], s[12:13], v[156:157]
	v_fma_f64 v[64:65], v[133:134], s[6:7], v[64:65]
	v_add_f64 v[133:134], v[176:177], v[186:187]
	v_fma_f64 v[142:143], v[154:155], s[6:7], v[142:143]
	v_add_f64 v[127:128], v[127:128], v[158:159]
	v_add_f64 v[154:155], v[160:161], v[170:171]
	v_fma_f64 v[156:157], v[162:163], s[4:5], v[150:151]
	v_add_f64 v[158:159], v[110:111], -v[182:183]
	v_add_f64 v[125:126], v[125:126], v[168:169]
	v_add_f64 v[144:145], v[144:145], v[166:167]
	v_fma_f64 v[10:11], v[133:134], -0.5, v[10:11]
	v_fma_f64 v[146:147], v[148:149], s[14:15], v[146:147]
	v_fma_f64 v[142:143], v[148:149], s[14:15], v[142:143]
	;; [unrolled: 1-line block ×4, first 2 shown]
	v_add_f64 v[127:128], v[154:155], v[178:179]
	v_fma_f64 v[133:134], v[158:159], s[6:7], v[156:157]
	v_add_f64 v[152:153], v[176:177], -v[170:171]
	v_add_f64 v[154:155], v[110:111], v[182:183]
	v_add_f64 v[156:157], v[186:187], -v[178:179]
	v_fma_f64 v[150:151], v[162:163], s[10:11], v[150:151]
	v_fma_f64 v[160:161], v[158:159], s[10:11], v[10:11]
	v_add_f64 v[164:165], v[170:171], -v[176:177]
	v_add_f64 v[166:167], v[178:179], -v[186:187]
	v_fma_f64 v[10:11], v[158:159], s[4:5], v[10:11]
	v_add_f64 v[168:169], v[66:67], v[112:113]
	v_fma_f64 v[154:155], v[154:155], -0.5, v[66:67]
	v_add_f64 v[172:173], v[176:177], -v[186:187]
	v_add_f64 v[152:153], v[152:153], v[156:157]
	v_fma_f64 v[150:151], v[158:159], s[12:13], v[150:151]
	v_fma_f64 v[156:157], v[162:163], s[6:7], v[160:161]
	v_add_f64 v[158:159], v[164:165], v[166:167]
	v_fma_f64 v[10:11], v[162:163], s[12:13], v[10:11]
	v_add_f64 v[160:161], v[112:113], v[108:109]
	v_add_f64 v[162:163], v[168:169], v[110:111]
	v_fma_f64 v[164:165], v[172:173], s[10:11], v[154:155]
	v_add_f64 v[166:167], v[170:171], -v[178:179]
	v_fma_f64 v[133:134], v[152:153], s[14:15], v[133:134]
	v_fma_f64 v[150:151], v[152:153], s[14:15], v[150:151]
	;; [unrolled: 1-line block ×4, first 2 shown]
	v_fma_f64 v[66:67], v[160:161], -0.5, v[66:67]
	v_add_f64 v[156:157], v[162:163], v[182:183]
	v_add_f64 v[162:163], v[88:89], v[90:91]
	v_fma_f64 v[10:11], v[158:159], s[14:15], v[10:11]
	v_fma_f64 v[158:159], v[166:167], s[12:13], v[164:165]
	v_add_f64 v[160:161], v[112:113], -v[110:111]
	v_add_f64 v[164:165], v[108:109], -v[182:183]
	;; [unrolled: 1-line block ×3, first 2 shown]
	v_fma_f64 v[168:169], v[166:167], s[4:5], v[66:67]
	v_add_f64 v[112:113], v[182:183], -v[108:109]
	v_fma_f64 v[66:67], v[166:167], s[10:11], v[66:67]
	v_add_f64 v[170:171], v[4:5], v[94:95]
	v_fma_f64 v[162:163], v[162:163], -0.5, v[4:5]
	v_add_f64 v[174:175], v[74:75], -v[86:87]
	v_fma_f64 v[154:155], v[166:167], s[6:7], v[154:155]
	v_add_f64 v[166:167], v[94:95], v[92:93]
	v_add_f64 v[160:161], v[160:161], v[164:165]
	v_fma_f64 v[164:165], v[172:173], s[12:13], v[168:169]
	v_add_f64 v[110:111], v[110:111], v[112:113]
	v_fma_f64 v[66:67], v[172:173], s[6:7], v[66:67]
	;; [unrolled: 2-line block ×3, first 2 shown]
	v_add_f64 v[170:171], v[82:83], -v[84:85]
	v_fma_f64 v[4:5], v[166:167], -0.5, v[4:5]
	v_add_f64 v[108:109], v[156:157], v[108:109]
	v_fma_f64 v[156:157], v[160:161], s[14:15], v[158:159]
	v_fma_f64 v[154:155], v[160:161], s[14:15], v[154:155]
	;; [unrolled: 1-line block ×4, first 2 shown]
	v_add_f64 v[110:111], v[112:113], v[90:91]
	v_fma_f64 v[112:113], v[170:171], s[6:7], v[168:169]
	v_add_f64 v[160:161], v[94:95], -v[88:89]
	v_add_f64 v[164:165], v[60:61], v[74:75]
	v_add_f64 v[166:167], v[82:83], v[84:85]
	v_add_f64 v[168:169], v[92:93], -v[90:91]
	v_fma_f64 v[162:163], v[174:175], s[10:11], v[162:163]
	v_fma_f64 v[172:173], v[170:171], s[10:11], v[4:5]
	v_add_f64 v[176:177], v[88:89], -v[94:95]
	v_add_f64 v[178:179], v[90:91], -v[92:93]
	v_fma_f64 v[4:5], v[170:171], s[4:5], v[4:5]
	v_add_f64 v[164:165], v[164:165], v[82:83]
	v_fma_f64 v[166:167], v[166:167], -0.5, v[60:61]
	v_add_f64 v[94:95], v[94:95], -v[92:93]
	v_add_f64 v[160:161], v[160:161], v[168:169]
	v_fma_f64 v[162:163], v[170:171], s[12:13], v[162:163]
	v_fma_f64 v[168:169], v[174:175], s[6:7], v[172:173]
	v_add_f64 v[170:171], v[176:177], v[178:179]
	v_fma_f64 v[4:5], v[174:175], s[12:13], v[4:5]
	v_add_f64 v[172:173], v[74:75], v[86:87]
	v_add_f64 v[164:165], v[164:165], v[84:85]
	v_fma_f64 v[174:175], v[94:95], s[10:11], v[166:167]
	v_add_f64 v[88:89], v[88:89], -v[90:91]
	v_add_f64 v[90:91], v[110:111], v[92:93]
	v_fma_f64 v[92:93], v[160:161], s[14:15], v[112:113]
	v_fma_f64 v[112:113], v[170:171], s[14:15], v[168:169]
	;; [unrolled: 1-line block ×3, first 2 shown]
	v_fma_f64 v[60:61], v[172:173], -0.5, v[60:61]
	v_add_f64 v[170:171], v[6:7], v[46:47]
	v_fma_f64 v[110:111], v[160:161], s[14:15], v[162:163]
	v_add_f64 v[160:161], v[164:165], v[86:87]
	v_fma_f64 v[162:163], v[88:89], s[12:13], v[174:175]
	v_add_f64 v[164:165], v[74:75], -v[82:83]
	v_add_f64 v[168:169], v[86:87], -v[84:85]
	v_fma_f64 v[166:167], v[94:95], s[4:5], v[166:167]
	v_add_f64 v[172:173], v[40:41], v[42:43]
	v_fma_f64 v[174:175], v[88:89], s[4:5], v[60:61]
	v_add_f64 v[74:75], v[82:83], -v[74:75]
	v_add_f64 v[82:83], v[84:85], -v[86:87]
	v_fma_f64 v[60:61], v[88:89], s[10:11], v[60:61]
	v_add_f64 v[86:87], v[170:171], v[40:41]
	v_add_f64 v[84:85], v[164:165], v[168:169]
	v_fma_f64 v[88:89], v[88:89], s[6:7], v[166:167]
	v_fma_f64 v[164:165], v[172:173], -0.5, v[6:7]
	v_add_f64 v[166:167], v[32:33], -v[34:35]
	v_fma_f64 v[168:169], v[94:95], s[12:13], v[174:175]
	v_add_f64 v[74:75], v[74:75], v[82:83]
	v_fma_f64 v[60:61], v[94:95], s[6:7], v[60:61]
	v_add_f64 v[82:83], v[46:47], v[54:55]
	v_add_f64 v[86:87], v[86:87], v[42:43]
	v_fma_f64 v[162:163], v[84:85], s[14:15], v[162:163]
	v_fma_f64 v[170:171], v[84:85], s[14:15], v[88:89]
	;; [unrolled: 1-line block ×3, first 2 shown]
	v_add_f64 v[88:89], v[36:37], -v[38:39]
	v_fma_f64 v[168:169], v[74:75], s[14:15], v[168:169]
	v_fma_f64 v[74:75], v[74:75], s[14:15], v[60:61]
	v_fma_f64 v[6:7], v[82:83], -0.5, v[6:7]
	v_add_f64 v[60:61], v[86:87], v[54:55]
	v_add_f64 v[82:83], v[46:47], -v[40:41]
	v_add_f64 v[86:87], v[54:55], -v[42:43]
	v_fma_f64 v[94:95], v[166:167], s[10:11], v[164:165]
	v_add_f64 v[164:165], v[62:63], v[32:33]
	v_fma_f64 v[84:85], v[88:89], s[6:7], v[84:85]
	v_add_f64 v[172:173], v[36:37], v[38:39]
	v_fma_f64 v[174:175], v[88:89], s[10:11], v[6:7]
	v_add_f64 v[176:177], v[40:41], -v[46:47]
	v_add_f64 v[178:179], v[42:43], -v[54:55]
	v_add_f64 v[82:83], v[82:83], v[86:87]
	v_fma_f64 v[86:87], v[88:89], s[12:13], v[94:95]
	v_fma_f64 v[6:7], v[88:89], s[4:5], v[6:7]
	v_add_f64 v[88:89], v[164:165], v[36:37]
	v_fma_f64 v[94:95], v[172:173], -0.5, v[62:63]
	v_add_f64 v[46:47], v[46:47], -v[54:55]
	v_fma_f64 v[54:55], v[166:167], s[6:7], v[174:175]
	v_add_f64 v[164:165], v[176:177], v[178:179]
	v_fma_f64 v[84:85], v[82:83], s[14:15], v[84:85]
	v_fma_f64 v[82:83], v[82:83], s[14:15], v[86:87]
	v_fma_f64 v[6:7], v[166:167], s[12:13], v[6:7]
	v_add_f64 v[86:87], v[88:89], v[38:39]
	v_add_f64 v[88:89], v[32:33], v[34:35]
	v_fma_f64 v[166:167], v[46:47], s[10:11], v[94:95]
	v_add_f64 v[40:41], v[40:41], -v[42:43]
	v_fma_f64 v[42:43], v[164:165], s[14:15], v[54:55]
	v_add_f64 v[54:55], v[24:25], v[26:27]
	v_add_f64 v[172:173], v[32:33], -v[36:37]
	v_add_f64 v[174:175], v[34:35], -v[38:39]
	v_fma_f64 v[6:7], v[164:165], s[14:15], v[6:7]
	v_fma_f64 v[62:63], v[88:89], -0.5, v[62:63]
	v_add_f64 v[86:87], v[86:87], v[34:35]
	v_fma_f64 v[88:89], v[40:41], s[12:13], v[166:167]
	v_add_f64 v[164:165], v[0:1], v[22:23]
	v_fma_f64 v[54:55], v[54:55], -0.5, v[0:1]
	v_add_f64 v[166:167], v[2:3], -v[30:31]
	v_add_f64 v[32:33], v[36:37], -v[32:33]
	;; [unrolled: 1-line block ×3, first 2 shown]
	v_fma_f64 v[36:37], v[40:41], s[10:11], v[62:63]
	v_add_f64 v[172:173], v[172:173], v[174:175]
	v_fma_f64 v[94:95], v[46:47], s[4:5], v[94:95]
	v_fma_f64 v[174:175], v[40:41], s[4:5], v[62:63]
	v_add_f64 v[38:39], v[164:165], v[24:25]
	v_fma_f64 v[62:63], v[166:167], s[4:5], v[54:55]
	v_add_f64 v[164:165], v[20:21], -v[18:19]
	v_add_f64 v[176:177], v[22:23], -v[24:25]
	;; [unrolled: 1-line block ×3, first 2 shown]
	v_add_f64 v[32:33], v[32:33], v[34:35]
	v_fma_f64 v[34:35], v[46:47], s[6:7], v[36:37]
	v_fma_f64 v[40:41], v[40:41], s[6:7], v[94:95]
	v_add_f64 v[94:95], v[22:23], v[44:45]
	v_fma_f64 v[174:175], v[46:47], s[12:13], v[174:175]
	v_add_f64 v[36:37], v[38:39], v[26:27]
	;; [unrolled: 2-line block ×3, first 2 shown]
	v_add_f64 v[62:63], v[2:3], v[30:31]
	v_fma_f64 v[178:179], v[32:33], s[14:15], v[34:35]
	v_add_f64 v[34:35], v[20:21], v[18:19]
	v_fma_f64 v[176:177], v[172:173], s[14:15], v[88:89]
	v_fma_f64 v[0:1], v[94:95], -0.5, v[0:1]
	v_fma_f64 v[174:175], v[32:33], s[14:15], v[174:175]
	v_add_f64 v[32:33], v[36:37], v[44:45]
	v_fma_f64 v[36:37], v[46:47], s[14:15], v[38:39]
	v_fma_f64 v[38:39], v[166:167], s[10:11], v[54:55]
	v_add_f64 v[54:55], v[24:25], -v[22:23]
	v_add_f64 v[88:89], v[26:27], -v[44:45]
	v_add_f64 v[94:95], v[16:17], v[2:3]
	v_fma_f64 v[34:35], v[34:35], -0.5, v[16:17]
	v_add_f64 v[22:23], v[22:23], -v[44:45]
	v_add_f64 v[24:25], v[24:25], -v[26:27]
	v_fma_f64 v[16:17], v[62:63], -0.5, v[16:17]
	v_add_f64 v[62:63], v[2:3], -v[20:21]
	v_add_f64 v[2:3], v[20:21], -v[2:3]
	v_add_f64 v[26:27], v[54:55], v[88:89]
	v_add_f64 v[44:45], v[94:95], v[20:21]
	v_add_f64 v[20:21], v[18:19], -v[30:31]
	v_fma_f64 v[54:55], v[22:23], s[10:11], v[34:35]
	v_fma_f64 v[34:35], v[22:23], s[4:5], v[34:35]
	;; [unrolled: 1-line block ×7, first 2 shown]
	v_add_f64 v[88:89], v[30:31], -v[18:19]
	v_add_f64 v[18:19], v[44:45], v[18:19]
	v_fma_f64 v[44:45], v[24:25], s[12:13], v[54:55]
	v_fma_f64 v[24:25], v[24:25], s[6:7], v[34:35]
	;; [unrolled: 1-line block ×3, first 2 shown]
	v_add_f64 v[2:3], v[2:3], v[20:21]
	v_fma_f64 v[16:17], v[22:23], s[6:7], v[16:17]
	s_waitcnt lgkmcnt(0)
	; wave barrier
	ds_write2_b64 v223, v[28:29], v[48:49] offset1:77
	ds_write2_b64 v223, v[50:51], v[52:53] offset0:154 offset1:231
	ds_write_b64 v223, v[12:13] offset:2464
	v_fma_f64 v[38:39], v[164:165], s[12:13], v[38:39]
	v_fma_f64 v[40:41], v[166:167], s[6:7], v[40:41]
	;; [unrolled: 1-line block ×5, first 2 shown]
	buffer_load_dword v3, off, s[40:43], 0 offset:8 ; 4-byte Folded Reload
	v_mov_b32_e32 v2, 0xc08
	v_cmp_lt_u32_e64 s[0:1], 21, v222
	v_cndmask_b32_e64 v2, 0, v2, s[0:1]
	v_add_f64 v[127:128], v[127:128], v[186:187]
	v_add_f64 v[54:55], v[62:63], v[88:89]
	v_fma_f64 v[22:23], v[26:27], s[14:15], v[40:41]
	v_fma_f64 v[0:1], v[26:27], s[14:15], v[0:1]
	;; [unrolled: 1-line block ×3, first 2 shown]
	v_add_f64 v[26:27], v[18:19], v[30:31]
	v_add_f64 v[56:57], v[56:57], v[248:249]
	v_fma_f64 v[30:31], v[54:55], s[14:15], v[44:45]
	v_fma_f64 v[38:39], v[54:55], s[14:15], v[24:25]
	s_waitcnt vmcnt(0)
	v_lshlrev_b32_e32 v3, 3, v3
	v_add3_u32 v28, 0, v2, v3
	ds_write2_b64 v28, v[14:15], v[96:97] offset1:77
	ds_write2_b64 v28, v[98:99], v[78:79] offset0:154 offset1:231
	ds_write_b64 v28, v[80:81] offset:2464
	buffer_load_dword v2, off, s[40:43], 0 offset:16 ; 4-byte Folded Reload
	v_mov_b32_e32 v3, 3
	v_lshlrev_b32_sdwa v3, v3, v117 dst_sel:DWORD dst_unused:UNUSED_PAD src0_sel:DWORD src1_sel:BYTE_0
	v_add_u32_e32 v117, 0x1800, v116
	s_waitcnt vmcnt(0)
	v_mul_u32_u24_e32 v2, 0xc08, v2
	v_add3_u32 v29, 0, v2, v3
	v_mul_u32_u24_e32 v2, 0xc08, v114
	v_lshlrev_b32_e32 v3, 3, v136
	v_add3_u32 v114, 0, v2, v3
	ds_write2_b64 v29, v[125:126], v[138:139] offset1:77
	ds_write2_b64 v29, v[140:141], v[8:9] offset0:154 offset1:231
	ds_write_b64 v29, v[129:130] offset:2464
	ds_write2_b64 v117, v[127:128], v[133:134] offset0:2 offset1:79
	ds_write2_b64 v117, v[152:153], v[10:11] offset0:156 offset1:233
	ds_write_b64 v116, v[150:151] offset:8624
	ds_write2_b64 v114, v[90:91], v[92:93] offset1:77
	ds_write2_b64 v114, v[112:113], v[4:5] offset0:154 offset1:231
	ds_write_b64 v114, v[110:111] offset:2464
	buffer_load_dword v2, off, s[40:43], 0 offset:20 ; 4-byte Folded Reload
	buffer_load_dword v3, off, s[40:43], 0 offset:24 ; 4-byte Folded Reload
	v_lshl_add_u32 v111, v137, 3, 0
	v_add_u32_e32 v112, 0x3000, v111
	s_waitcnt vmcnt(1)
	v_mul_u32_u24_e32 v2, 0xc08, v2
	s_waitcnt vmcnt(0)
	v_lshlrev_b32_e32 v3, 3, v3
	v_add3_u32 v110, 0, v2, v3
	ds_write2_b64 v110, v[60:61], v[84:85] offset1:77
	ds_write2_b64 v110, v[42:43], v[6:7] offset0:154 offset1:231
	ds_write_b64 v110, v[82:83] offset:2464
	ds_write2_b64 v112, v[32:33], v[36:37] offset0:4 offset1:81
	ds_write2_b64 v112, v[22:23], v[0:1] offset0:158 offset1:235
	ds_write_b64 v111, v[20:21] offset:14784
	s_waitcnt lgkmcnt(0)
	; wave barrier
	s_waitcnt lgkmcnt(0)
	ds_read2_b64 v[0:3], v223 offset1:55
	ds_read2_b64 v[4:7], v119 offset0:74 offset1:129
	ds_read2_b64 v[12:15], v123 offset0:2 offset1:57
	;; [unrolled: 1-line block ×16, first 2 shown]
	ds_read_b64 v[24:25], v223 offset:14960
	s_waitcnt lgkmcnt(0)
	; wave barrier
	s_waitcnt lgkmcnt(0)
	ds_write2_b64 v223, v[56:57], v[68:69] offset1:77
	ds_write2_b64 v223, v[70:71], v[72:73] offset0:154 offset1:231
	ds_write_b64 v223, v[58:59] offset:2464
	ds_write2_b64 v28, v[76:77], v[102:103] offset1:77
	ds_write2_b64 v28, v[104:105], v[106:107] offset0:154 offset1:231
	ds_write_b64 v28, v[100:101] offset:2464
	;; [unrolled: 3-line block ×3, first 2 shown]
	ds_write2_b64 v117, v[108:109], v[156:157] offset0:2 offset1:79
	ds_write2_b64 v117, v[158:159], v[66:67] offset0:156 offset1:233
	ds_write_b64 v116, v[154:155] offset:8624
	ds_write2_b64 v114, v[160:161], v[162:163] offset1:77
	ds_write2_b64 v114, v[168:169], v[74:75] offset0:154 offset1:231
	ds_write_b64 v114, v[170:171] offset:2464
	ds_write2_b64 v110, v[86:87], v[176:177] offset1:77
	ds_write2_b64 v110, v[174:175], v[178:179] offset0:154 offset1:231
	ds_write_b64 v110, v[172:173] offset:2464
	ds_write2_b64 v112, v[26:27], v[30:31] offset0:4 offset1:81
	ds_write2_b64 v112, v[164:165], v[166:167] offset0:158 offset1:235
	ds_write_b64 v111, v[38:39] offset:14784
	s_waitcnt lgkmcnt(0)
	; wave barrier
	s_waitcnt lgkmcnt(0)
	s_and_saveexec_b64 s[0:1], vcc
	s_cbranch_execz .LBB0_21
; %bb.20:
	v_add_u32_e32 v196, 0x14a, v222
	v_lshlrev_b32_e32 v123, 2, v196
	v_lshlrev_b64 v[26:27], 4, v[123:124]
	v_mov_b32_e32 v112, s9
	v_add_co_u32_e32 v26, vcc, s8, v26
	v_addc_co_u32_e32 v27, vcc, v112, v27, vcc
	v_add_co_u32_e32 v30, vcc, 0x17a0, v26
	v_add_u32_e32 v56, 0x113, v222
	v_addc_co_u32_e32 v31, vcc, 0, v27, vcc
	v_lshlrev_b32_e32 v123, 2, v56
	v_add_co_u32_e32 v68, vcc, 0x1000, v26
	v_lshlrev_b64 v[56:57], 4, v[123:124]
	v_addc_co_u32_e32 v69, vcc, 0, v27, vcc
	v_add_co_u32_e32 v56, vcc, s8, v56
	s_movk_i32 s9, 0x17a0
	v_addc_co_u32_e32 v57, vcc, v112, v57, vcc
	v_add_co_u32_e32 v70, vcc, s9, v56
	s_movk_i32 s0, 0x1000
	global_load_dwordx4 v[26:29], v[30:31], off offset:32
	global_load_dwordx4 v[36:39], v[30:31], off offset:16
	v_addc_co_u32_e32 v71, vcc, 0, v57, vcc
	v_add_co_u32_e32 v72, vcc, s0, v56
	v_addc_co_u32_e32 v73, vcc, 0, v57, vcc
	global_load_dwordx4 v[56:59], v[70:71], off offset:16
	global_load_dwordx4 v[64:67], v[72:73], off offset:1952
	;; [unrolled: 1-line block ×6, first 2 shown]
	ds_read_b64 v[30:31], v223 offset:14960
	v_add_u32_e32 v197, 0xdc, v222
	v_add_u32_e32 v113, 0x2000, v223
	;; [unrolled: 1-line block ×4, first 2 shown]
	v_lshlrev_b32_e32 v123, 2, v197
	v_add_u32_e32 v111, 0x1000, v223
	v_add_u32_e32 v157, 0x2800, v223
	;; [unrolled: 1-line block ×3, first 2 shown]
	ds_read2_b64 v[70:73], v113 offset0:76 offset1:131
	ds_read2_b64 v[131:134], v111 offset0:148 offset1:203
	;; [unrolled: 1-line block ×6, first 2 shown]
	v_lshlrev_b64 v[68:69], 4, v[123:124]
	v_add_u32_e32 v195, 0x1800, v223
	v_add_co_u32_e32 v158, vcc, s8, v68
	v_addc_co_u32_e32 v159, vcc, v112, v69, vcc
	s_movk_i32 s16, 0x3000
	s_movk_i32 s1, 0x2000
	s_waitcnt vmcnt(7) lgkmcnt(3)
	v_mul_f64 v[86:87], v[26:27], v[137:138]
	s_waitcnt vmcnt(6)
	v_mul_f64 v[68:69], v[36:37], v[70:71]
	v_mul_f64 v[70:71], v[38:39], v[70:71]
	;; [unrolled: 1-line block ×3, first 2 shown]
	s_waitcnt vmcnt(4)
	v_mul_f64 v[122:123], v[64:65], v[131:132]
	s_waitcnt vmcnt(3)
	v_mul_f64 v[125:126], v[100:101], v[133:134]
	s_waitcnt vmcnt(2)
	v_mul_f64 v[137:138], v[105:106], v[30:31]
	v_mul_f64 v[133:134], v[102:103], v[133:134]
	v_mul_f64 v[30:31], v[107:108], v[30:31]
	v_fma_f64 v[38:39], v[16:17], v[38:39], v[68:69]
	v_fma_f64 v[16:17], v[16:17], v[36:37], -v[70:71]
	v_fma_f64 v[36:37], v[34:35], v[26:27], -v[109:110]
	v_fma_f64 v[26:27], v[34:35], v[28:29], v[86:87]
	v_fma_f64 v[28:29], v[22:23], v[102:103], v[125:126]
	;; [unrolled: 1-line block ×3, first 2 shown]
	v_fma_f64 v[22:23], v[22:23], v[100:101], -v[133:134]
	v_fma_f64 v[70:71], v[24:25], v[105:106], -v[30:31]
	v_fma_f64 v[86:87], v[20:21], v[66:67], v[122:123]
	s_waitcnt lgkmcnt(1)
	v_mul_f64 v[118:119], v[56:57], v[141:142]
	v_add_f64 v[102:103], v[16:17], v[36:37]
	v_add_f64 v[30:31], v[38:39], v[26:27]
	v_add_f64 v[100:101], v[38:39], -v[26:27]
	v_add_f64 v[122:123], v[28:29], v[34:35]
	v_add_f64 v[147:148], v[16:17], -v[22:23]
	;; [unrolled: 2-line block ×3, first 2 shown]
	v_add_f64 v[149:150], v[36:37], -v[70:71]
	v_add_f64 v[153:154], v[22:23], -v[16:17]
	v_add_f64 v[22:23], v[4:5], v[22:23]
	v_fma_f64 v[102:103], v[102:103], -0.5, v[4:5]
	v_add_f64 v[24:25], v[16:17], -v[36:37]
	v_add_f64 v[105:106], v[38:39], -v[28:29]
	v_fma_f64 v[4:5], v[151:152], -0.5, v[4:5]
	v_add_f64 v[125:126], v[28:29], -v[38:39]
	v_add_f64 v[137:138], v[28:29], v[74:75]
	v_add_f64 v[28:29], v[28:29], -v[34:35]
	v_fma_f64 v[30:31], v[30:31], -0.5, v[74:75]
	v_fma_f64 v[74:75], v[122:123], -0.5, v[74:75]
	v_add_f64 v[122:123], v[147:148], v[149:150]
	v_add_f64 v[107:108], v[26:27], -v[34:35]
	v_fma_f64 v[147:148], v[100:101], s[4:5], v[4:5]
	v_fma_f64 v[4:5], v[100:101], s[10:11], v[4:5]
	v_add_f64 v[133:134], v[34:35], -v[26:27]
	v_add_f64 v[38:39], v[38:39], v[137:138]
	v_add_f64 v[16:17], v[16:17], v[22:23]
	v_fma_f64 v[22:23], v[109:110], s[4:5], v[30:31]
	v_fma_f64 v[30:31], v[109:110], s[10:11], v[30:31]
	;; [unrolled: 1-line block ×5, first 2 shown]
	v_add_f64 v[105:106], v[105:106], v[107:108]
	v_add_f64 v[107:108], v[125:126], v[133:134]
	v_fma_f64 v[133:134], v[28:29], s[10:11], v[102:103]
	v_fma_f64 v[102:103], v[28:29], s[4:5], v[102:103]
	;; [unrolled: 1-line block ×8, first 2 shown]
	v_add_co_u32_e32 v4, vcc, s0, v158
	v_addc_co_u32_e32 v5, vcc, 0, v159, vcc
	v_add_f64 v[155:156], v[70:71], -v[36:37]
	v_add_f64 v[26:27], v[26:27], v[38:39]
	v_fma_f64 v[133:134], v[100:101], s[12:13], v[133:134]
	v_fma_f64 v[137:138], v[100:101], s[6:7], v[102:103]
	global_load_dwordx4 v[100:103], v[4:5], off offset:1952
	v_add_co_u32_e32 v4, vcc, s9, v158
	v_addc_co_u32_e32 v5, vcc, 0, v159, vcc
	v_add_f64 v[125:126], v[153:154], v[155:156]
	v_add_f64 v[38:39], v[34:35], v[26:27]
	v_fma_f64 v[22:23], v[107:108], s[14:15], v[22:23]
	v_fma_f64 v[34:35], v[107:108], s[14:15], v[24:25]
	;; [unrolled: 1-line block ×4, first 2 shown]
	global_load_dwordx4 v[105:108], v[4:5], off offset:48
	global_load_dwordx4 v[147:150], v[4:5], off offset:32
	;; [unrolled: 1-line block ×3, first 2 shown]
	s_waitcnt vmcnt(5) lgkmcnt(0)
	v_mul_f64 v[68:69], v[114:115], v[145:146]
	s_waitcnt vmcnt(4)
	v_mul_f64 v[74:75], v[127:128], v[135:136]
	v_fma_f64 v[24:25], v[122:123], s[14:15], v[109:110]
	v_mul_f64 v[66:67], v[66:67], v[131:132]
	v_mul_f64 v[122:123], v[116:117], v[145:146]
	;; [unrolled: 1-line block ×4, first 2 shown]
	v_fma_f64 v[58:59], v[62:63], v[58:59], v[118:119]
	v_fma_f64 v[68:69], v[54:55], v[116:117], v[68:69]
	;; [unrolled: 1-line block ×3, first 2 shown]
	v_add_u32_e32 v116, 0x400, v223
	v_fma_f64 v[64:65], v[20:21], v[64:65], -v[66:67]
	v_fma_f64 v[114:115], v[54:55], v[114:115], -v[122:123]
	;; [unrolled: 1-line block ×4, first 2 shown]
	v_add_f64 v[54:55], v[58:59], -v[86:87]
	v_add_f64 v[129:130], v[86:87], v[68:69]
	v_add_f64 v[56:57], v[74:75], -v[68:69]
	v_add_f64 v[66:67], v[58:59], v[74:75]
	v_fma_f64 v[20:21], v[125:126], s[14:15], v[133:134]
	v_fma_f64 v[32:33], v[125:126], s[14:15], v[137:138]
	v_add_f64 v[125:126], v[64:65], v[114:115]
	ds_read2_b64 v[116:119], v116 offset0:92 offset1:147
	v_add_f64 v[122:123], v[109:110], -v[4:5]
	v_add_f64 v[16:17], v[16:17], v[36:37]
	v_add_f64 v[54:55], v[54:55], v[56:57]
	v_add_f64 v[36:37], v[64:65], -v[114:115]
	s_waitcnt lgkmcnt(0)
	v_fma_f64 v[62:63], v[129:130], -0.5, v[118:119]
	v_fma_f64 v[56:57], v[66:67], -0.5, v[118:119]
	v_add_f64 v[118:119], v[86:87], v[118:119]
	v_fma_f64 v[125:126], v[125:126], -0.5, v[98:99]
	v_add_f64 v[145:146], v[58:59], -v[74:75]
	v_add_f64 v[127:128], v[86:87], -v[58:59]
	v_add_f64 v[129:130], v[68:69], -v[74:75]
	v_add_f64 v[133:134], v[4:5], -v[114:115]
	v_fma_f64 v[66:67], v[122:123], s[10:11], v[62:63]
	v_fma_f64 v[62:63], v[122:123], s[4:5], v[62:63]
	v_add_f64 v[58:59], v[58:59], v[118:119]
	v_fma_f64 v[131:132], v[36:37], s[4:5], v[56:57]
	v_fma_f64 v[56:57], v[36:37], s[10:11], v[56:57]
	v_add_f64 v[118:119], v[109:110], -v[64:65]
	v_fma_f64 v[135:136], v[145:146], s[4:5], v[125:126]
	v_add_f64 v[86:87], v[86:87], -v[68:69]
	v_fma_f64 v[66:67], v[36:37], s[6:7], v[66:67]
	v_fma_f64 v[62:63], v[36:37], s[12:13], v[62:63]
	v_add_f64 v[74:75], v[74:75], v[58:59]
	v_add_f64 v[36:37], v[16:17], v[70:71]
	;; [unrolled: 1-line block ×4, first 2 shown]
	v_fma_f64 v[129:130], v[122:123], s[6:7], v[131:132]
	v_fma_f64 v[56:57], v[122:123], s[12:13], v[56:57]
	v_add_f64 v[118:119], v[118:119], v[133:134]
	v_fma_f64 v[122:123], v[86:87], s[12:13], v[135:136]
	v_add_f64 v[70:71], v[68:69], v[74:75]
	v_add_f64 v[74:75], v[64:65], -v[109:110]
	v_fma_f64 v[16:17], v[16:17], -0.5, v[98:99]
	v_add_f64 v[64:65], v[98:99], v[64:65]
	v_add_u32_e32 v98, 0xa5, v222
	v_fma_f64 v[58:59], v[54:55], s[14:15], v[66:67]
	v_fma_f64 v[66:67], v[127:128], s[14:15], v[56:57]
	;; [unrolled: 1-line block ×3, first 2 shown]
	v_lshlrev_b32_e32 v123, 2, v98
	v_lshlrev_b64 v[98:99], 4, v[123:124]
	v_fma_f64 v[62:63], v[54:55], s[14:15], v[62:63]
	v_fma_f64 v[54:55], v[127:128], s[14:15], v[129:130]
	ds_read2_b64 v[127:130], v111 offset0:38 offset1:93
	v_add_co_u32_e32 v111, vcc, s8, v98
	v_addc_co_u32_e32 v156, vcc, v112, v99, vcc
	v_add_co_u32_e32 v98, vcc, s0, v111
	v_addc_co_u32_e32 v99, vcc, 0, v156, vcc
	v_fma_f64 v[68:69], v[145:146], s[10:11], v[125:126]
	v_add_f64 v[125:126], v[114:115], -v[4:5]
	global_load_dwordx4 v[131:134], v[98:99], off offset:1952
	s_waitcnt vmcnt(4) lgkmcnt(0)
	v_mul_f64 v[98:99], v[100:101], v[129:130]
	ds_read2_b64 v[135:138], v157 offset0:40 offset1:95
	v_add_co_u32_e32 v155, vcc, s9, v111
	v_addc_co_u32_e32 v156, vcc, 0, v156, vcc
	v_fma_f64 v[68:69], v[86:87], s[6:7], v[68:69]
	v_add_f64 v[74:75], v[74:75], v[125:126]
	s_waitcnt vmcnt(3)
	v_mul_f64 v[122:123], v[105:106], v[143:144]
	v_fma_f64 v[125:126], v[86:87], s[10:11], v[16:17]
	v_fma_f64 v[16:17], v[86:87], s[4:5], v[16:17]
	v_add_f64 v[64:65], v[109:110], v[64:65]
	s_waitcnt vmcnt(1)
	v_mul_f64 v[86:87], v[151:152], v[139:140]
	v_fma_f64 v[98:99], v[90:91], v[102:103], v[98:99]
	s_waitcnt lgkmcnt(0)
	v_mul_f64 v[109:110], v[147:148], v[137:138]
	v_mul_f64 v[102:103], v[102:103], v[129:130]
	;; [unrolled: 1-line block ×4, first 2 shown]
	global_load_dwordx4 v[137:140], v[155:156], off offset:48
	v_fma_f64 v[122:123], v[52:53], v[107:108], v[122:123]
	v_mul_f64 v[157:158], v[107:108], v[143:144]
	v_add_f64 v[4:5], v[64:65], v[4:5]
	v_fma_f64 v[16:17], v[145:146], s[6:7], v[16:17]
	v_fma_f64 v[100:101], v[90:91], v[100:101], -v[102:103]
	v_fma_f64 v[129:130], v[60:61], v[151:152], -v[129:130]
	;; [unrolled: 1-line block ×3, first 2 shown]
	v_fma_f64 v[94:95], v[94:95], v[149:150], v[109:110]
	global_load_dwordx4 v[107:110], v[155:156], off offset:32
	global_load_dwordx4 v[141:144], v[155:156], off offset:16
	v_fma_f64 v[147:148], v[60:61], v[153:154], v[86:87]
	v_add_f64 v[159:160], v[98:99], v[122:123]
	v_fma_f64 v[105:106], v[52:53], v[105:106], -v[157:158]
	v_fma_f64 v[52:53], v[145:146], s[12:13], v[125:126]
	v_fma_f64 v[60:61], v[118:119], s[14:15], v[68:69]
	v_add_f64 v[90:91], v[129:130], -v[165:166]
	v_add_f64 v[145:146], v[94:95], -v[122:123]
	v_add_f64 v[68:69], v[4:5], v[114:115]
	v_add_f64 v[125:126], v[147:148], v[94:95]
	v_fma_f64 v[86:87], v[159:160], -0.5, v[116:117]
	v_add_f64 v[102:103], v[147:148], -v[98:99]
	v_add_f64 v[149:150], v[100:101], -v[105:106]
	v_fma_f64 v[52:53], v[74:75], s[14:15], v[52:53]
	v_fma_f64 v[64:65], v[74:75], s[14:15], v[16:17]
	v_add_f64 v[74:75], v[98:99], v[116:117]
	v_add_f64 v[118:119], v[98:99], -v[147:148]
	v_fma_f64 v[4:5], v[125:126], -0.5, v[116:117]
	v_fma_f64 v[151:152], v[90:91], s[10:11], v[86:87]
	v_add_f64 v[16:17], v[102:103], v[145:146]
	v_add_f64 v[125:126], v[122:123], -v[94:95]
	v_add_f64 v[114:115], v[100:101], v[105:106]
	v_fma_f64 v[116:117], v[90:91], s[4:5], v[86:87]
	v_add_f64 v[74:75], v[147:148], v[74:75]
	v_add_f64 v[167:168], v[98:99], -v[122:123]
	v_fma_f64 v[145:146], v[149:150], s[4:5], v[4:5]
	v_fma_f64 v[4:5], v[149:150], s[10:11], v[4:5]
	;; [unrolled: 1-line block ×3, first 2 shown]
	v_add_f64 v[118:119], v[118:119], v[125:126]
	v_add_f64 v[161:162], v[100:101], -v[129:130]
	v_fma_f64 v[116:117], v[149:150], s[12:13], v[116:117]
	v_add_f64 v[74:75], v[94:95], v[74:75]
	v_add_f64 v[163:164], v[105:106], -v[165:166]
	v_fma_f64 v[125:126], v[90:91], s[6:7], v[145:146]
	v_fma_f64 v[4:5], v[90:91], s[12:13], v[4:5]
	;; [unrolled: 1-line block ×3, first 2 shown]
	v_fma_f64 v[102:103], v[114:115], -0.5, v[96:97]
	v_add_f64 v[114:115], v[147:148], -v[94:95]
	v_add_f64 v[145:146], v[129:130], -v[100:101]
	;; [unrolled: 1-line block ×3, first 2 shown]
	v_fma_f64 v[94:95], v[16:17], s[14:15], v[116:117]
	v_fma_f64 v[90:91], v[118:119], s[14:15], v[125:126]
	;; [unrolled: 1-line block ×3, first 2 shown]
	v_add_u32_e32 v5, 0x6e, v222
	v_add_u32_e32 v4, 0x3000, v223
	v_fma_f64 v[149:150], v[114:115], s[4:5], v[102:103]
	v_fma_f64 v[151:152], v[114:115], s[10:11], v[102:103]
	v_add_f64 v[102:103], v[122:123], v[74:75]
	v_lshlrev_b32_e32 v123, 2, v5
	v_lshlrev_b64 v[122:123], 4, v[123:124]
	v_add_f64 v[74:75], v[145:146], v[147:148]
	v_add_co_u32_e32 v5, vcc, s8, v122
	v_addc_co_u32_e32 v111, vcc, v112, v123, vcc
	v_add_co_u32_e32 v122, vcc, s9, v5
	v_addc_co_u32_e32 v123, vcc, 0, v111, vcc
	;; [unrolled: 2-line block ×3, first 2 shown]
	v_fma_f64 v[125:126], v[167:168], s[12:13], v[149:150]
	v_fma_f64 v[169:170], v[167:168], s[6:7], v[151:152]
	ds_read2_b64 v[116:119], v4 offset0:114 offset1:169
	global_load_dwordx4 v[145:148], v[122:123], off offset:32
	global_load_dwordx4 v[149:152], v[122:123], off offset:16
	s_nop 0
	global_load_dwordx4 v[153:156], v[153:154], off offset:1952
	v_add_f64 v[16:17], v[129:130], v[165:166]
	global_load_dwordx4 v[157:160], v[122:123], off offset:48
	s_waitcnt vmcnt(7)
	v_mul_f64 v[171:172], v[131:132], v[127:128]
	v_add_f64 v[122:123], v[161:162], v[163:164]
	s_waitcnt vmcnt(6) lgkmcnt(0)
	v_mul_f64 v[173:174], v[137:138], v[118:119]
	ds_read2_b64 v[161:164], v195 offset0:112 offset1:167
	v_mul_f64 v[118:119], v[139:140], v[118:119]
	v_add_u32_e32 v5, 55, v222
	v_fma_f64 v[16:17], v[16:17], -0.5, v[96:97]
	v_add_f64 v[96:97], v[96:97], v[100:101]
	s_waitcnt vmcnt(5)
	v_mul_f64 v[177:178], v[109:110], v[135:136]
	s_waitcnt vmcnt(4) lgkmcnt(0)
	v_mul_f64 v[100:101], v[141:142], v[163:164]
	v_mul_f64 v[135:136], v[107:108], v[135:136]
	v_fma_f64 v[181:182], v[80:81], v[137:138], -v[118:119]
	v_fma_f64 v[175:176], v[167:168], s[10:11], v[16:17]
	v_fma_f64 v[16:17], v[167:168], s[4:5], v[16:17]
	;; [unrolled: 1-line block ×4, first 2 shown]
	v_mul_f64 v[173:174], v[143:144], v[163:164]
	v_mul_f64 v[133:134], v[133:134], v[127:128]
	v_fma_f64 v[177:178], v[92:93], v[107:108], -v[177:178]
	v_fma_f64 v[108:109], v[92:93], v[109:110], v[135:136]
	v_add_f64 v[96:97], v[129:130], v[96:97]
	v_fma_f64 v[16:17], v[114:115], s[6:7], v[16:17]
	ds_read2_b64 v[127:130], v223 offset0:110 offset1:165
	v_add_f64 v[139:140], v[167:168], v[171:172]
	v_fma_f64 v[173:174], v[84:85], v[141:142], -v[173:174]
	v_fma_f64 v[141:142], v[84:85], v[143:144], v[100:101]
	v_fma_f64 v[179:180], v[88:89], v[131:132], -v[133:134]
	v_fma_f64 v[88:89], v[114:115], s[12:13], v[175:176]
	v_add_f64 v[118:119], v[108:109], -v[171:172]
	v_add_f64 v[100:101], v[96:97], v[165:166]
	v_fma_f64 v[96:97], v[122:123], s[14:15], v[16:17]
	s_waitcnt lgkmcnt(0)
	v_fma_f64 v[80:81], v[139:140], -0.5, v[129:130]
	v_add_f64 v[110:111], v[173:174], -v[177:178]
	v_add_f64 v[131:132], v[141:142], v[108:109]
	v_add_f64 v[114:115], v[141:142], -v[167:168]
	v_add_f64 v[133:134], v[179:180], -v[181:182]
	v_fma_f64 v[84:85], v[74:75], s[14:15], v[125:126]
	v_fma_f64 v[92:93], v[74:75], s[14:15], v[169:170]
	;; [unrolled: 1-line block ×3, first 2 shown]
	v_add_f64 v[122:123], v[171:172], -v[108:109]
	v_fma_f64 v[135:136], v[110:111], s[10:11], v[80:81]
	v_fma_f64 v[16:17], v[131:132], -0.5, v[129:130]
	v_add_f64 v[74:75], v[114:115], v[118:119]
	v_add_f64 v[114:115], v[179:180], v[181:182]
	v_fma_f64 v[80:81], v[110:111], s[4:5], v[80:81]
	v_add_f64 v[118:119], v[167:168], -v[141:142]
	v_add_f64 v[129:130], v[167:168], v[129:130]
	v_add_f64 v[169:170], v[141:142], -v[108:109]
	v_add_f64 v[100:101], v[100:101], v[105:106]
	v_fma_f64 v[125:126], v[133:134], s[4:5], v[16:17]
	v_fma_f64 v[16:17], v[133:134], s[10:11], v[16:17]
	v_fma_f64 v[114:115], v[114:115], -0.5, v[50:51]
	v_fma_f64 v[105:106], v[133:134], s[6:7], v[135:136]
	v_fma_f64 v[80:81], v[133:134], s[12:13], v[80:81]
	v_add_f64 v[118:119], v[118:119], v[122:123]
	v_add_f64 v[131:132], v[177:178], -v[181:182]
	v_add_f64 v[137:138], v[167:168], -v[171:172]
	v_fma_f64 v[122:123], v[110:111], s[6:7], v[125:126]
	v_add_f64 v[125:126], v[141:142], v[129:130]
	v_add_f64 v[129:130], v[173:174], -v[179:180]
	v_fma_f64 v[133:134], v[169:170], s[4:5], v[114:115]
	v_fma_f64 v[16:17], v[110:111], s[12:13], v[16:17]
	;; [unrolled: 1-line block ×6, first 2 shown]
	v_add_f64 v[74:75], v[108:109], v[125:126]
	v_add_f64 v[122:123], v[173:174], v[177:178]
	;; [unrolled: 1-line block ×3, first 2 shown]
	v_fma_f64 v[125:126], v[137:138], s[12:13], v[133:134]
	v_fma_f64 v[114:115], v[118:119], s[14:15], v[16:17]
	;; [unrolled: 1-line block ×3, first 2 shown]
	ds_read2_b64 v[129:132], v104 offset0:184 offset1:239
	v_add_f64 v[133:134], v[179:180], -v[173:174]
	v_add_f64 v[118:119], v[171:172], v[74:75]
	v_fma_f64 v[74:75], v[122:123], -0.5, v[50:51]
	s_waitcnt vmcnt(2)
	v_mul_f64 v[122:123], v[149:150], v[161:162]
	v_fma_f64 v[104:105], v[108:109], s[14:15], v[125:126]
	v_add_f64 v[135:136], v[181:182], -v[177:178]
	v_fma_f64 v[108:109], v[108:109], s[14:15], v[16:17]
	s_waitcnt vmcnt(0)
	v_mul_f64 v[16:17], v[157:158], v[116:117]
	s_waitcnt lgkmcnt(0)
	v_mul_f64 v[125:126], v[153:154], v[131:132]
	v_mul_f64 v[116:117], v[159:160], v[116:117]
	v_fma_f64 v[175:176], v[137:138], s[10:11], v[74:75]
	v_fma_f64 v[183:184], v[82:83], v[151:152], v[122:123]
	v_lshlrev_b32_e32 v123, 2, v5
	v_add_f64 v[171:172], v[133:134], v[135:136]
	ds_read2_b64 v[133:136], v113 offset0:186 offset1:241
	v_fma_f64 v[187:188], v[78:79], v[159:160], v[16:17]
	v_lshlrev_b64 v[16:17], 4, v[123:124]
	v_fma_f64 v[74:75], v[137:138], s[4:5], v[74:75]
	v_add_co_u32_e32 v5, vcc, s8, v16
	v_addc_co_u32_e32 v112, vcc, v112, v17, vcc
	v_add_co_u32_e32 v16, vcc, s0, v5
	v_addc_co_u32_e32 v17, vcc, 0, v112, vcc
	global_load_dwordx4 v[137:140], v[16:17], off offset:1952
	v_add_co_u32_e32 v16, vcc, s9, v5
	v_fma_f64 v[125:126], v[42:43], v[155:156], v[125:126]
	s_waitcnt lgkmcnt(0)
	v_mul_f64 v[185:186], v[145:146], v[135:136]
	v_addc_co_u32_e32 v17, vcc, 0, v112, vcc
	v_mul_f64 v[112:113], v[151:152], v[161:162]
	v_mul_f64 v[122:123], v[147:148], v[135:136]
	global_load_dwordx4 v[141:144], v[16:17], off offset:48
	global_load_dwordx4 v[161:164], v[16:17], off offset:32
	;; [unrolled: 1-line block ×3, first 2 shown]
	v_mul_f64 v[16:17], v[155:156], v[131:132]
	v_fma_f64 v[131:132], v[46:47], v[147:148], v[185:186]
	v_add_f64 v[50:51], v[50:51], v[179:180]
	v_add_f64 v[135:136], v[125:126], v[187:188]
	v_fma_f64 v[82:83], v[82:83], v[149:150], -v[112:113]
	v_fma_f64 v[185:186], v[46:47], v[145:146], -v[122:123]
	v_fma_f64 v[46:47], v[169:170], s[12:13], v[175:176]
	v_fma_f64 v[191:192], v[78:79], v[157:158], -v[116:117]
	v_fma_f64 v[189:190], v[42:43], v[153:154], -v[16:17]
	v_add_f64 v[16:17], v[183:184], v[131:132]
	v_fma_f64 v[42:43], v[169:170], s[6:7], v[74:75]
	v_add_f64 v[50:51], v[173:174], v[50:51]
	v_fma_f64 v[74:75], v[135:136], -0.5, v[127:128]
	v_add_f64 v[122:123], v[82:83], -v[185:186]
	v_fma_f64 v[78:79], v[171:172], s[14:15], v[46:47]
	v_add_f64 v[46:47], v[183:184], -v[125:126]
	v_add_f64 v[116:117], v[189:190], -v[191:192]
	v_fma_f64 v[16:17], v[16:17], -0.5, v[127:128]
	v_add_f64 v[135:136], v[131:132], -v[187:188]
	v_fma_f64 v[112:113], v[171:172], s[14:15], v[42:43]
	v_add_f64 v[42:43], v[50:51], v[177:178]
	v_fma_f64 v[50:51], v[122:123], s[10:11], v[74:75]
	v_fma_f64 v[74:75], v[122:123], s[4:5], v[74:75]
	v_add_f64 v[145:146], v[125:126], -v[183:184]
	v_add_f64 v[147:148], v[187:188], -v[131:132]
	v_fma_f64 v[149:150], v[116:117], s[4:5], v[16:17]
	v_add_f64 v[46:47], v[46:47], v[135:136]
	v_fma_f64 v[16:17], v[116:117], s[10:11], v[16:17]
	v_add_f64 v[127:128], v[125:126], v[127:128]
	v_fma_f64 v[50:51], v[116:117], s[6:7], v[50:51]
	v_fma_f64 v[74:75], v[116:117], s[12:13], v[74:75]
	v_add_f64 v[116:117], v[42:43], v[181:182]
	v_add_f64 v[145:146], v[145:146], v[147:148]
	v_fma_f64 v[149:150], v[122:123], s[6:7], v[149:150]
	v_add_f64 v[135:136], v[189:190], v[191:192]
	v_fma_f64 v[42:43], v[122:123], s[12:13], v[16:17]
	;; [unrolled: 2-line block ×3, first 2 shown]
	v_fma_f64 v[147:148], v[46:47], s[14:15], v[74:75]
	v_add_f64 v[46:47], v[82:83], v[185:186]
	v_add_f64 v[125:126], v[125:126], -v[187:188]
	v_fma_f64 v[16:17], v[145:146], s[14:15], v[149:150]
	v_fma_f64 v[50:51], v[135:136], -0.5, v[48:49]
	v_add_f64 v[135:136], v[183:184], -v[131:132]
	v_fma_f64 v[42:43], v[145:146], s[14:15], v[42:43]
	v_add_f64 v[74:75], v[131:132], v[127:128]
	v_add_f64 v[127:128], v[82:83], -v[189:190]
	v_fma_f64 v[181:182], v[46:47], -0.5, v[48:49]
	v_add_co_u32_e32 v46, vcc, s9, v120
	v_addc_co_u32_e32 v47, vcc, 0, v121, vcc
	v_add_co_u32_e32 v120, vcc, s0, v120
	v_addc_co_u32_e32 v121, vcc, 0, v121, vcc
	global_load_dwordx4 v[149:152], v[120:121], off offset:1952
	global_load_dwordx4 v[153:156], v[46:47], off offset:48
	ds_read2_b64 v[157:160], v4 offset0:4 offset1:59
	global_load_dwordx4 v[169:172], v[46:47], off offset:32
	global_load_dwordx4 v[173:176], v[46:47], off offset:16
	v_add_f64 v[131:132], v[185:186], -v[191:192]
	v_fma_f64 v[145:146], v[135:136], s[4:5], v[50:51]
	v_fma_f64 v[50:51], v[135:136], s[10:11], v[50:51]
	ds_read2_b64 v[177:180], v195 offset0:2 offset1:57
	v_add_f64 v[183:184], v[191:192], -v[185:186]
	v_fma_f64 v[193:194], v[125:126], s[10:11], v[181:182]
	v_add_f64 v[46:47], v[187:188], v[74:75]
	v_add_f64 v[127:128], v[127:128], v[131:132]
	v_fma_f64 v[120:121], v[125:126], s[12:13], v[145:146]
	v_fma_f64 v[50:51], v[125:126], s[6:7], v[50:51]
	v_add_f64 v[131:132], v[189:190], -v[82:83]
	s_waitcnt vmcnt(7)
	v_mul_f64 v[4:5], v[137:138], v[129:130]
	v_fma_f64 v[125:126], v[125:126], s[4:5], v[181:182]
	v_mul_f64 v[129:130], v[139:140], v[129:130]
	v_fma_f64 v[120:121], v[127:128], s[14:15], v[120:121]
	v_fma_f64 v[145:146], v[127:128], s[14:15], v[50:51]
	s_waitcnt vmcnt(6) lgkmcnt(1)
	v_mul_f64 v[74:75], v[141:142], v[159:160]
	s_waitcnt vmcnt(4) lgkmcnt(0)
	v_mul_f64 v[50:51], v[165:166], v[179:180]
	v_mul_f64 v[181:182], v[161:162], v[133:134]
	v_add_f64 v[127:128], v[131:132], v[183:184]
	v_fma_f64 v[4:5], v[40:41], v[139:140], v[4:5]
	v_mul_f64 v[133:134], v[163:164], v[133:134]
	v_mul_f64 v[139:140], v[143:144], v[159:160]
	v_fma_f64 v[131:132], v[135:136], s[12:13], v[193:194]
	v_fma_f64 v[183:184], v[10:11], v[143:144], v[74:75]
	v_mul_f64 v[74:75], v[167:168], v[179:180]
	v_fma_f64 v[167:168], v[14:15], v[167:168], v[50:51]
	v_fma_f64 v[143:144], v[44:45], v[163:164], v[181:182]
	v_add_f64 v[179:180], v[48:49], v[189:190]
	v_fma_f64 v[161:162], v[44:45], v[161:162], -v[133:134]
	v_fma_f64 v[44:45], v[135:136], s[6:7], v[125:126]
	v_fma_f64 v[125:126], v[40:41], v[137:138], -v[129:130]
	v_add_f64 v[159:160], v[4:5], v[183:184]
	v_fma_f64 v[163:164], v[14:15], v[165:166], -v[74:75]
	v_fma_f64 v[135:136], v[10:11], v[141:142], -v[139:140]
	v_add_f64 v[10:11], v[167:168], v[143:144]
	ds_read2_b64 v[48:51], v223 offset1:55
	v_add_f64 v[74:75], v[82:83], v[179:180]
	v_fma_f64 v[14:15], v[127:128], s[14:15], v[131:132]
	v_fma_f64 v[40:41], v[127:128], s[14:15], v[44:45]
	v_add_f64 v[44:45], v[167:168], -v[4:5]
	s_waitcnt lgkmcnt(0)
	v_fma_f64 v[82:83], v[159:160], -0.5, v[50:51]
	v_add_f64 v[133:134], v[163:164], -v[161:162]
	v_add_f64 v[127:128], v[125:126], -v[135:136]
	v_fma_f64 v[10:11], v[10:11], -0.5, v[50:51]
	v_add_f64 v[129:130], v[143:144], -v[183:184]
	v_add_f64 v[137:138], v[125:126], v[135:136]
	v_add_f64 v[139:140], v[4:5], -v[167:168]
	v_add_f64 v[141:142], v[183:184], -v[143:144]
	;; [unrolled: 1-line block ×3, first 2 shown]
	v_fma_f64 v[131:132], v[133:134], s[10:11], v[82:83]
	v_fma_f64 v[82:83], v[133:134], s[4:5], v[82:83]
	;; [unrolled: 1-line block ×3, first 2 shown]
	v_add_f64 v[165:166], v[44:45], v[129:130]
	v_add_f64 v[44:45], v[4:5], v[50:51]
	v_add_f64 v[74:75], v[74:75], v[185:186]
	v_add_f64 v[139:140], v[139:140], v[141:142]
	v_add_f64 v[185:186], v[4:5], -v[183:184]
	v_fma_f64 v[50:51], v[127:128], s[6:7], v[131:132]
	v_fma_f64 v[131:132], v[137:138], -0.5, v[2:3]
	v_add_f64 v[137:138], v[167:168], -v[143:144]
	v_fma_f64 v[82:83], v[127:128], s[12:13], v[82:83]
	v_fma_f64 v[141:142], v[133:134], s[6:7], v[159:160]
	;; [unrolled: 1-line block ×3, first 2 shown]
	v_add_f64 v[159:160], v[167:168], v[44:45]
	v_add_f64 v[167:168], v[163:164], -v[125:126]
	v_fma_f64 v[129:130], v[165:166], s[14:15], v[50:51]
	v_add_f64 v[44:45], v[74:75], v[191:192]
	v_fma_f64 v[181:182], v[137:138], s[4:5], v[131:132]
	v_fma_f64 v[4:5], v[165:166], s[14:15], v[82:83]
	;; [unrolled: 1-line block ×4, first 2 shown]
	v_add_f64 v[82:83], v[143:144], v[159:160]
	v_add_f64 v[141:142], v[167:168], v[179:180]
	v_fma_f64 v[131:132], v[137:138], s[10:11], v[131:132]
	v_add_f64 v[143:144], v[125:126], -v[163:164]
	v_add_f64 v[159:160], v[135:136], -v[161:162]
	s_waitcnt vmcnt(3)
	v_mul_f64 v[165:166], v[149:150], v[76:77]
	s_waitcnt vmcnt(2)
	v_mul_f64 v[167:168], v[153:154], v[157:158]
	v_fma_f64 v[74:75], v[139:140], s[14:15], v[50:51]
	v_add_f64 v[133:134], v[183:184], v[82:83]
	v_add_f64 v[50:51], v[163:164], v[161:162]
	v_fma_f64 v[82:83], v[185:186], s[6:7], v[131:132]
	v_mul_f64 v[76:77], v[151:152], v[76:77]
	v_add_f64 v[131:132], v[143:144], v[159:160]
	v_fma_f64 v[139:140], v[6:7], v[151:152], v[165:166]
	v_fma_f64 v[143:144], v[8:9], v[155:156], v[167:168]
	s_waitcnt vmcnt(0)
	v_mul_f64 v[159:160], v[175:176], v[177:178]
	v_mul_f64 v[165:166], v[171:172], v[72:73]
	v_fma_f64 v[50:51], v[50:51], -0.5, v[2:3]
	v_mul_f64 v[167:168], v[173:174], v[177:178]
	v_mul_f64 v[72:73], v[169:170], v[72:73]
	;; [unrolled: 1-line block ×3, first 2 shown]
	v_add_f64 v[2:3], v[2:3], v[125:126]
	v_add_f64 v[155:156], v[139:140], v[143:144]
	v_fma_f64 v[157:158], v[12:13], v[173:174], -v[159:160]
	v_fma_f64 v[159:160], v[18:19], v[169:170], -v[165:166]
	v_fma_f64 v[165:166], v[185:186], s[10:11], v[50:51]
	v_fma_f64 v[12:13], v[12:13], v[175:176], v[167:168]
	;; [unrolled: 1-line block ×3, first 2 shown]
	v_fma_f64 v[6:7], v[6:7], v[149:150], -v[76:77]
	v_fma_f64 v[76:77], v[8:9], v[153:154], -v[151:152]
	v_fma_f64 v[8:9], v[155:156], -0.5, v[48:49]
	v_fma_f64 v[50:51], v[185:186], s[4:5], v[50:51]
	v_add_f64 v[125:126], v[157:158], -v[159:160]
	v_add_f64 v[2:3], v[163:164], v[2:3]
	v_fma_f64 v[127:128], v[185:186], s[12:13], v[181:182]
	v_fma_f64 v[72:73], v[137:138], s[12:13], v[165:166]
	v_add_f64 v[149:150], v[12:13], -v[139:140]
	v_add_f64 v[151:152], v[18:19], -v[143:144]
	v_add_f64 v[153:154], v[12:13], v[18:19]
	v_add_f64 v[155:156], v[6:7], -v[76:77]
	v_fma_f64 v[50:51], v[137:138], s[6:7], v[50:51]
	v_add_f64 v[137:138], v[2:3], v[161:162]
	v_fma_f64 v[161:162], v[125:126], s[4:5], v[8:9]
	v_fma_f64 v[127:128], v[141:142], s[14:15], v[127:128]
	;; [unrolled: 1-line block ×5, first 2 shown]
	v_fma_f64 v[82:83], v[153:154], -0.5, v[48:49]
	v_add_f64 v[141:142], v[149:150], v[151:152]
	v_fma_f64 v[72:73], v[131:132], s[14:15], v[50:51]
	v_add_f64 v[131:132], v[137:138], v[135:136]
	v_fma_f64 v[135:136], v[155:156], s[12:13], v[161:162]
	v_fma_f64 v[149:150], v[155:156], s[6:7], v[163:164]
	v_add_f64 v[151:152], v[139:140], -v[12:13]
	v_add_f64 v[153:154], v[143:144], -v[18:19]
	v_fma_f64 v[161:162], v[155:156], s[4:5], v[82:83]
	v_add_f64 v[163:164], v[6:7], v[76:77]
	v_fma_f64 v[82:83], v[155:156], s[10:11], v[82:83]
	v_add_f64 v[48:49], v[139:140], v[48:49]
	v_fma_f64 v[137:138], v[141:142], s[14:15], v[135:136]
	v_add_f64 v[135:136], v[157:158], v[159:160]
	v_fma_f64 v[50:51], v[141:142], s[14:15], v[149:150]
	v_add_f64 v[149:150], v[151:152], v[153:154]
	v_fma_f64 v[141:142], v[125:126], s[6:7], v[161:162]
	v_fma_f64 v[151:152], v[163:164], -0.5, v[0:1]
	v_add_f64 v[153:154], v[12:13], -v[18:19]
	v_fma_f64 v[82:83], v[125:126], s[12:13], v[82:83]
	v_add_f64 v[12:13], v[12:13], v[48:49]
	v_add_f64 v[48:49], v[139:140], -v[143:144]
	v_fma_f64 v[125:126], v[135:136], -0.5, v[0:1]
	v_add_f64 v[135:136], v[157:158], -v[6:7]
	v_add_f64 v[0:1], v[0:1], v[6:7]
	v_add_f64 v[139:140], v[159:160], -v[76:77]
	v_fma_f64 v[155:156], v[153:154], s[4:5], v[151:152]
	v_fma_f64 v[151:152], v[153:154], s[10:11], v[151:152]
	v_add_f64 v[6:7], v[6:7], -v[157:158]
	v_add_f64 v[161:162], v[76:77], -v[159:160]
	v_fma_f64 v[163:164], v[48:49], s[10:11], v[125:126]
	v_fma_f64 v[125:126], v[48:49], s[4:5], v[125:126]
	v_add_f64 v[0:1], v[157:158], v[0:1]
	v_add_f64 v[12:13], v[18:19], v[12:13]
	;; [unrolled: 1-line block ×3, first 2 shown]
	v_fma_f64 v[135:136], v[48:49], s[12:13], v[155:156]
	v_fma_f64 v[139:140], v[48:49], s[6:7], v[151:152]
	v_add_f64 v[6:7], v[6:7], v[161:162]
	v_fma_f64 v[157:158], v[153:154], s[12:13], v[163:164]
	v_fma_f64 v[125:126], v[153:154], s[6:7], v[125:126]
	;; [unrolled: 1-line block ×4, first 2 shown]
	v_add_f64 v[0:1], v[0:1], v[159:160]
	v_fma_f64 v[48:49], v[18:19], s[14:15], v[135:136]
	v_fma_f64 v[135:136], v[18:19], s[14:15], v[139:140]
	v_mov_b32_e32 v223, v124
	v_fma_f64 v[139:140], v[6:7], s[14:15], v[157:158]
	v_fma_f64 v[149:150], v[6:7], s[14:15], v[125:126]
	buffer_load_dword v6, off, s[40:43], 0  ; 4-byte Folded Reload
	buffer_load_dword v7, off, s[40:43], 0 offset:4 ; 4-byte Folded Reload
	v_add_f64 v[155:156], v[143:144], v[12:13]
	v_add_f64 v[153:154], v[0:1], v[76:77]
	v_mov_b32_e32 v0, s3
	s_mov_b32 s4, 0x551c979b
	s_movk_i32 s3, 0x5000
	s_movk_i32 s5, 0x604
	s_waitcnt vmcnt(1)
	v_add_co_u32_e32 v76, vcc, s2, v6
	s_waitcnt vmcnt(0)
	v_addc_co_u32_e32 v77, vcc, v0, v7, vcc
	v_lshlrev_b64 v[0:1], 4, v[222:223]
	s_movk_i32 s2, 0x4000
	v_add_co_u32_e32 v0, vcc, v76, v0
	v_addc_co_u32_e32 v1, vcc, v77, v1, vcc
	v_add_co_u32_e32 v6, vcc, s0, v0
	v_addc_co_u32_e32 v7, vcc, 0, v1, vcc
	;; [unrolled: 2-line block ×4, first 2 shown]
	s_movk_i32 s2, 0x6000
	global_store_dwordx4 v[18:19], v[48:51], off offset:2096
	global_store_dwordx4 v[0:1], v[153:156], off
	v_add_co_u32_e32 v48, vcc, s2, v0
	v_addc_co_u32_e32 v49, vcc, 0, v1, vcc
	global_store_dwordx4 v[6:7], v[149:152], off offset:2064
	global_store_dwordx4 v[12:13], v[135:138], off offset:32
	;; [unrolled: 1-line block ×14, first 2 shown]
	v_mul_hi_u32 v8, v197, s4
	v_add_co_u32_e32 v2, vcc, s1, v0
	v_addc_co_u32_e32 v3, vcc, 0, v1, vcc
	v_lshrrev_b32_e32 v8, 7, v8
	v_mul_u32_u24_e32 v123, 0x604, v8
	v_add_co_u32_e32 v4, vcc, s3, v0
	v_lshlrev_b64 v[8:9], 4, v[123:124]
	v_addc_co_u32_e32 v5, vcc, 0, v1, vcc
	v_add_co_u32_e32 v8, vcc, v0, v8
	v_addc_co_u32_e32 v9, vcc, v1, v9, vcc
	v_add_co_u32_e32 v10, vcc, s1, v8
	v_addc_co_u32_e32 v11, vcc, 0, v9, vcc
	global_store_dwordx4 v[2:3], v[112:115], off offset:608
	global_store_dwordx4 v[12:13], v[108:111], off offset:2672
	global_store_dwordx4 v[4:5], v[104:107], off offset:640
	global_store_dwordx4 v[48:49], v[78:81], off offset:2704
	global_store_dwordx4 v[10:11], v[96:99], off offset:1488
	v_add_co_u32_e32 v10, vcc, s16, v8
	v_addc_co_u32_e32 v11, vcc, 0, v9, vcc
	global_store_dwordx4 v[10:11], v[92:95], off offset:3552
	v_add_co_u32_e32 v10, vcc, s3, v8
	v_addc_co_u32_e32 v11, vcc, 0, v9, vcc
	global_store_dwordx4 v[8:9], v[100:103], off offset:3520
	;; [unrolled: 3-line block ×3, first 2 shown]
	global_store_dwordx4 v[8:9], v[88:91], off offset:3584
	global_store_dwordx4 v[6:7], v[68:71], off offset:304
	;; [unrolled: 1-line block ×5, first 2 shown]
	v_mul_hi_u32 v2, v196, s4
	s_movk_i32 s1, 0x7000
	v_add_co_u32_e32 v0, vcc, s1, v0
	v_addc_co_u32_e32 v1, vcc, 0, v1, vcc
	global_store_dwordx4 v[0:1], v[52:55], off offset:368
	v_lshrrev_b32_e32 v0, 7, v2
	v_mad_u32_u24 v123, v0, s5, v196
	v_lshlrev_b64 v[0:1], 4, v[123:124]
	v_add_co_u32_e32 v0, vcc, v76, v0
	v_addc_co_u32_e32 v1, vcc, v77, v1, vcc
	v_add_co_u32_e32 v2, vcc, s0, v0
	v_addc_co_u32_e32 v3, vcc, 0, v1, vcc
	global_store_dwordx4 v[2:3], v[32:35], off offset:2064
	v_add_co_u32_e32 v2, vcc, s16, v0
	v_addc_co_u32_e32 v3, vcc, 0, v1, vcc
	global_store_dwordx4 v[2:3], v[28:31], off offset:32
	v_add_co_u32_e32 v2, vcc, 0x4000, v0
	v_addc_co_u32_e32 v3, vcc, 0, v1, vcc
	global_store_dwordx4 v[0:1], v[36:39], off
	v_add_co_u32_e32 v0, vcc, 0x6000, v0
	v_addc_co_u32_e32 v1, vcc, 0, v1, vcc
	global_store_dwordx4 v[2:3], v[24:27], off offset:2096
	global_store_dwordx4 v[0:1], v[20:23], off offset:64
.LBB0_21:
	s_endpgm
	.section	.rodata,"a",@progbits
	.p2align	6, 0x0
	.amdhsa_kernel fft_rtc_fwd_len1925_factors_7_11_5_5_wgs_55_tpt_55_halfLds_dp_ip_CI_unitstride_sbrr_dirReg
		.amdhsa_group_segment_fixed_size 0
		.amdhsa_private_segment_fixed_size 32
		.amdhsa_kernarg_size 88
		.amdhsa_user_sgpr_count 6
		.amdhsa_user_sgpr_private_segment_buffer 1
		.amdhsa_user_sgpr_dispatch_ptr 0
		.amdhsa_user_sgpr_queue_ptr 0
		.amdhsa_user_sgpr_kernarg_segment_ptr 1
		.amdhsa_user_sgpr_dispatch_id 0
		.amdhsa_user_sgpr_flat_scratch_init 0
		.amdhsa_user_sgpr_private_segment_size 0
		.amdhsa_uses_dynamic_stack 0
		.amdhsa_system_sgpr_private_segment_wavefront_offset 1
		.amdhsa_system_sgpr_workgroup_id_x 1
		.amdhsa_system_sgpr_workgroup_id_y 0
		.amdhsa_system_sgpr_workgroup_id_z 0
		.amdhsa_system_sgpr_workgroup_info 0
		.amdhsa_system_vgpr_workitem_id 0
		.amdhsa_next_free_vgpr 256
		.amdhsa_next_free_sgpr 44
		.amdhsa_reserve_vcc 1
		.amdhsa_reserve_flat_scratch 0
		.amdhsa_float_round_mode_32 0
		.amdhsa_float_round_mode_16_64 0
		.amdhsa_float_denorm_mode_32 3
		.amdhsa_float_denorm_mode_16_64 3
		.amdhsa_dx10_clamp 1
		.amdhsa_ieee_mode 1
		.amdhsa_fp16_overflow 0
		.amdhsa_exception_fp_ieee_invalid_op 0
		.amdhsa_exception_fp_denorm_src 0
		.amdhsa_exception_fp_ieee_div_zero 0
		.amdhsa_exception_fp_ieee_overflow 0
		.amdhsa_exception_fp_ieee_underflow 0
		.amdhsa_exception_fp_ieee_inexact 0
		.amdhsa_exception_int_div_zero 0
	.end_amdhsa_kernel
	.text
.Lfunc_end0:
	.size	fft_rtc_fwd_len1925_factors_7_11_5_5_wgs_55_tpt_55_halfLds_dp_ip_CI_unitstride_sbrr_dirReg, .Lfunc_end0-fft_rtc_fwd_len1925_factors_7_11_5_5_wgs_55_tpt_55_halfLds_dp_ip_CI_unitstride_sbrr_dirReg
                                        ; -- End function
	.section	.AMDGPU.csdata,"",@progbits
; Kernel info:
; codeLenInByte = 29540
; NumSgprs: 48
; NumVgprs: 256
; ScratchSize: 32
; MemoryBound: 1
; FloatMode: 240
; IeeeMode: 1
; LDSByteSize: 0 bytes/workgroup (compile time only)
; SGPRBlocks: 5
; VGPRBlocks: 63
; NumSGPRsForWavesPerEU: 48
; NumVGPRsForWavesPerEU: 256
; Occupancy: 1
; WaveLimiterHint : 1
; COMPUTE_PGM_RSRC2:SCRATCH_EN: 1
; COMPUTE_PGM_RSRC2:USER_SGPR: 6
; COMPUTE_PGM_RSRC2:TRAP_HANDLER: 0
; COMPUTE_PGM_RSRC2:TGID_X_EN: 1
; COMPUTE_PGM_RSRC2:TGID_Y_EN: 0
; COMPUTE_PGM_RSRC2:TGID_Z_EN: 0
; COMPUTE_PGM_RSRC2:TIDIG_COMP_CNT: 0
	.type	__hip_cuid_b5a62a84dcb6c753,@object ; @__hip_cuid_b5a62a84dcb6c753
	.section	.bss,"aw",@nobits
	.globl	__hip_cuid_b5a62a84dcb6c753
__hip_cuid_b5a62a84dcb6c753:
	.byte	0                               ; 0x0
	.size	__hip_cuid_b5a62a84dcb6c753, 1

	.ident	"AMD clang version 19.0.0git (https://github.com/RadeonOpenCompute/llvm-project roc-6.4.0 25133 c7fe45cf4b819c5991fe208aaa96edf142730f1d)"
	.section	".note.GNU-stack","",@progbits
	.addrsig
	.addrsig_sym __hip_cuid_b5a62a84dcb6c753
	.amdgpu_metadata
---
amdhsa.kernels:
  - .args:
      - .actual_access:  read_only
        .address_space:  global
        .offset:         0
        .size:           8
        .value_kind:     global_buffer
      - .offset:         8
        .size:           8
        .value_kind:     by_value
      - .actual_access:  read_only
        .address_space:  global
        .offset:         16
        .size:           8
        .value_kind:     global_buffer
      - .actual_access:  read_only
        .address_space:  global
        .offset:         24
        .size:           8
        .value_kind:     global_buffer
      - .offset:         32
        .size:           8
        .value_kind:     by_value
      - .actual_access:  read_only
        .address_space:  global
        .offset:         40
        .size:           8
        .value_kind:     global_buffer
      - .actual_access:  read_only
        .address_space:  global
        .offset:         48
        .size:           8
        .value_kind:     global_buffer
      - .offset:         56
        .size:           4
        .value_kind:     by_value
      - .actual_access:  read_only
        .address_space:  global
        .offset:         64
        .size:           8
        .value_kind:     global_buffer
      - .actual_access:  read_only
        .address_space:  global
        .offset:         72
        .size:           8
        .value_kind:     global_buffer
      - .address_space:  global
        .offset:         80
        .size:           8
        .value_kind:     global_buffer
    .group_segment_fixed_size: 0
    .kernarg_segment_align: 8
    .kernarg_segment_size: 88
    .language:       OpenCL C
    .language_version:
      - 2
      - 0
    .max_flat_workgroup_size: 55
    .name:           fft_rtc_fwd_len1925_factors_7_11_5_5_wgs_55_tpt_55_halfLds_dp_ip_CI_unitstride_sbrr_dirReg
    .private_segment_fixed_size: 32
    .sgpr_count:     48
    .sgpr_spill_count: 0
    .symbol:         fft_rtc_fwd_len1925_factors_7_11_5_5_wgs_55_tpt_55_halfLds_dp_ip_CI_unitstride_sbrr_dirReg.kd
    .uniform_work_group_size: 1
    .uses_dynamic_stack: false
    .vgpr_count:     256
    .vgpr_spill_count: 8
    .wavefront_size: 64
amdhsa.target:   amdgcn-amd-amdhsa--gfx906
amdhsa.version:
  - 1
  - 2
...

	.end_amdgpu_metadata
